;; amdgpu-corpus repo=pytorch/pytorch kind=compiled arch=gfx90a opt=O3
	.text
	.amdgcn_target "amdgcn-amd-amdhsa--gfx90a"
	.amdhsa_code_object_version 6
	.section	.text._ZN2at6native12_GLOBAL__N_137upsample_bicubic2d_out_frame_parallelIddEEviT0_S3_bN5torch10headeronly6detail27GenericPackedTensorAccessorINS6_14TensorAccessorIN3c108ArrayRefIlEEKT_Lm3ENS5_16DefaultPtrTraitsElEENS_6detail16IndexBoundsCheckILm4ElEESD_Lm4ESE_lEENS7_INS8_ISB_SC_Lm3ESE_lEESI_SC_Lm4ESE_lEE,"axG",@progbits,_ZN2at6native12_GLOBAL__N_137upsample_bicubic2d_out_frame_parallelIddEEviT0_S3_bN5torch10headeronly6detail27GenericPackedTensorAccessorINS6_14TensorAccessorIN3c108ArrayRefIlEEKT_Lm3ENS5_16DefaultPtrTraitsElEENS_6detail16IndexBoundsCheckILm4ElEESD_Lm4ESE_lEENS7_INS8_ISB_SC_Lm3ESE_lEESI_SC_Lm4ESE_lEE,comdat
	.globl	_ZN2at6native12_GLOBAL__N_137upsample_bicubic2d_out_frame_parallelIddEEviT0_S3_bN5torch10headeronly6detail27GenericPackedTensorAccessorINS6_14TensorAccessorIN3c108ArrayRefIlEEKT_Lm3ENS5_16DefaultPtrTraitsElEENS_6detail16IndexBoundsCheckILm4ElEESD_Lm4ESE_lEENS7_INS8_ISB_SC_Lm3ESE_lEESI_SC_Lm4ESE_lEE ; -- Begin function _ZN2at6native12_GLOBAL__N_137upsample_bicubic2d_out_frame_parallelIddEEviT0_S3_bN5torch10headeronly6detail27GenericPackedTensorAccessorINS6_14TensorAccessorIN3c108ArrayRefIlEEKT_Lm3ENS5_16DefaultPtrTraitsElEENS_6detail16IndexBoundsCheckILm4ElEESD_Lm4ESE_lEENS7_INS8_ISB_SC_Lm3ESE_lEESI_SC_Lm4ESE_lEE
	.p2align	8
	.type	_ZN2at6native12_GLOBAL__N_137upsample_bicubic2d_out_frame_parallelIddEEviT0_S3_bN5torch10headeronly6detail27GenericPackedTensorAccessorINS6_14TensorAccessorIN3c108ArrayRefIlEEKT_Lm3ENS5_16DefaultPtrTraitsElEENS_6detail16IndexBoundsCheckILm4ElEESD_Lm4ESE_lEENS7_INS8_ISB_SC_Lm3ESE_lEESI_SC_Lm4ESE_lEE,@function
_ZN2at6native12_GLOBAL__N_137upsample_bicubic2d_out_frame_parallelIddEEviT0_S3_bN5torch10headeronly6detail27GenericPackedTensorAccessorINS6_14TensorAccessorIN3c108ArrayRefIlEEKT_Lm3ENS5_16DefaultPtrTraitsElEENS_6detail16IndexBoundsCheckILm4ElEESD_Lm4ESE_lEENS7_INS8_ISB_SC_Lm3ESE_lEESI_SC_Lm4ESE_lEE: ; @_ZN2at6native12_GLOBAL__N_137upsample_bicubic2d_out_frame_parallelIddEEviT0_S3_bN5torch10headeronly6detail27GenericPackedTensorAccessorINS6_14TensorAccessorIN3c108ArrayRefIlEEKT_Lm3ENS5_16DefaultPtrTraitsElEENS_6detail16IndexBoundsCheckILm4ElEESD_Lm4ESE_lEENS7_INS8_ISB_SC_Lm3ESE_lEESI_SC_Lm4ESE_lEE
; %bb.0:
	s_load_dword s0, s[4:5], 0xbc
	s_load_dword s1, s[4:5], 0x0
	s_add_u32 s34, s4, 0xb0
	s_addc_u32 s35, s5, 0
	s_waitcnt lgkmcnt(0)
	s_and_b32 s0, s0, 0xffff
	s_mul_i32 s6, s6, s0
	v_add_u32_e32 v0, s6, v0
	v_cmp_gt_i32_e32 vcc, s1, v0
	s_and_saveexec_b64 s[0:1], vcc
	s_cbranch_execz .LBB0_10
; %bb.1:
	s_load_dwordx4 s[0:3], s[4:5], 0x80
	v_sub_u32_e32 v2, 0, v0
	v_max_i32_e32 v2, v0, v2
	s_load_dword s6, s[4:5], 0x28
	s_load_dwordx4 s[28:31], s[4:5], 0x30
	s_load_dword s8, s[4:5], 0x40
	s_waitcnt lgkmcnt(0)
	s_abs_i32 s1, s2
	v_cvt_f32_u32_e32 v1, s1
	s_sub_i32 s3, 0, s1
	v_xor_b32_e32 v3, s2, v0
	v_ashrrev_i32_e32 v3, 31, v3
	v_rcp_iflag_f32_e32 v1, v1
	s_cmp_lg_u32 s30, s0
	s_mul_i32 s6, s28, s6
	v_mul_f32_e32 v1, 0x4f7ffffe, v1
	v_cvt_u32_f32_e32 v1, v1
	v_mul_lo_u32 v4, s3, v1
	v_mul_hi_u32 v4, v1, v4
	v_add_u32_e32 v1, v1, v4
	v_mul_hi_u32 v1, v2, v1
	v_mul_lo_u32 v4, v1, s1
	v_sub_u32_e32 v2, v2, v4
	v_add_u32_e32 v5, 1, v1
	v_cmp_le_u32_e32 vcc, s1, v2
	v_subrev_u32_e32 v4, s1, v2
	v_cndmask_b32_e32 v1, v1, v5, vcc
	v_cndmask_b32_e32 v2, v2, v4, vcc
	v_add_u32_e32 v4, 1, v1
	v_cmp_le_u32_e32 vcc, s1, v2
	v_cndmask_b32_e32 v1, v1, v4, vcc
	v_xor_b32_e32 v1, v1, v3
	v_sub_u32_e32 v43, v1, v3
	s_cselect_b64 s[0:1], -1, 0
	s_cmp_lg_u32 s8, s2
	v_mul_lo_u32 v1, v43, s2
	s_cselect_b64 s[2:3], -1, 0
	s_or_b64 s[0:1], s[2:3], s[0:1]
	s_cmp_lt_i32 s7, s6
	s_cselect_b64 s[10:11], -1, 0
	v_sub_u32_e32 v42, v0, v1
	v_cndmask_b32_e64 v0, 0, 1, s[10:11]
	s_mov_b64 s[2:3], -1
	s_and_b64 vcc, exec, s[0:1]
	v_cmp_ne_u32_e64 s[0:1], 1, v0
	s_cbranch_vccz .LBB0_6
; %bb.2:
	s_and_b64 vcc, exec, s[0:1]
	s_cbranch_vccnz .LBB0_5
; %bb.3:
	s_load_dword s2, s[4:5], 0x18
	s_load_dwordx4 s[12:15], s[4:5], 0x8
	v_cvt_f64_i32_e32 v[0:1], v43
	v_add_f64 v[2:3], v[0:1], 0.5
	s_load_dwordx8 s[20:27], s[4:5], 0x48
	s_waitcnt lgkmcnt(0)
	s_bitcmp1_b32 s2, 0
	v_mul_f64 v[0:1], v[0:1], s[12:13]
	v_fma_f64 v[2:3], v[2:3], s[12:13], -0.5
	s_cselect_b64 vcc, -1, 0
	v_cndmask_b32_e32 v1, v3, v1, vcc
	v_cndmask_b32_e32 v0, v2, v0, vcc
	v_cvt_f32_f64_e32 v2, v[0:1]
	v_floor_f32_e32 v2, v2
	v_cvt_i32_f32_e32 v36, v2
	v_cvt_f64_i32_e32 v[2:3], v42
	v_mul_f64 v[4:5], v[2:3], s[14:15]
	v_add_f64 v[2:3], v[2:3], 0.5
	v_fma_f64 v[2:3], v[2:3], s[14:15], -0.5
	v_cndmask_b32_e32 v3, v3, v5, vcc
	v_cndmask_b32_e32 v2, v2, v4, vcc
	v_cvt_f32_f64_e32 v4, v[2:3]
	v_floor_f32_e32 v4, v4
	v_cvt_i32_f32_e32 v8, v4
	v_cvt_f64_i32_e32 v[4:5], v36
	v_add_f64 v[14:15], v[0:1], -v[4:5]
	s_add_i32 s8, s8, -1
	v_cvt_f64_i32_e32 v[0:1], v8
	v_add_f64 v[6:7], v[2:3], -v[0:1]
	v_add_u32_e32 v0, -1, v8
	v_min_i32_e32 v0, s8, v0
	v_max_i32_e32 v1, 0, v0
	v_mad_u64_u32 v[18:19], s[2:3], s26, v1, 0
	v_mov_b32_e32 v0, v19
	v_mad_u64_u32 v[0:1], s[2:3], s27, v1, v[0:1]
	v_mov_b32_e32 v19, v0
	v_min_i32_e32 v0, s8, v8
	v_max_i32_e32 v1, 0, v0
	v_mad_u64_u32 v[20:21], s[2:3], s26, v1, 0
	v_mov_b32_e32 v0, v21
	v_mad_u64_u32 v[0:1], s[2:3], s27, v1, v[0:1]
	v_mov_b32_e32 v21, v0
	v_add_u32_e32 v0, 1, v8
	v_min_i32_e32 v0, s8, v0
	v_max_i32_e32 v1, 0, v0
	v_mad_u64_u32 v[22:23], s[2:3], s26, v1, 0
	v_mov_b32_e32 v0, v23
	v_mad_u64_u32 v[0:1], s[2:3], s27, v1, v[0:1]
	v_mov_b32_e32 v23, v0
	v_add_u32_e32 v0, 2, v8
	v_min_i32_e32 v0, s8, v0
	v_max_i32_e32 v1, 0, v0
	v_mad_u64_u32 v[24:25], s[2:3], s26, v1, 0
	v_mov_b32_e32 v0, v25
	v_mov_b32_e32 v16, 0
	v_mad_u64_u32 v[0:1], s[2:3], s27, v1, v[0:1]
	v_mov_b32_e32 v17, 0x400e0000
	v_mov_b32_e32 v25, v0
	v_add_f64 v[2:3], v[6:7], 1.0
	v_pk_mov_b32 v[0:1], v[16:17], v[16:17] op_sel:[0,1]
	v_mov_b32_e32 v26, 0
	v_fmac_f64_e32 v[0:1], 0xbfe80000, v[2:3]
	v_mov_b32_e32 v27, 0xc0180000
	v_fma_f64 v[4:5], v[2:3], v[0:1], v[26:27]
	v_mov_b32_e32 v0, 0
	v_mov_b32_e32 v28, 0
	;; [unrolled: 1-line block ×4, first 2 shown]
	v_fma_f64 v[2:3], v[2:3], v[4:5], v[0:1]
	v_pk_mov_b32 v[4:5], v[28:29], v[28:29] op_sel:[0,1]
	v_fmac_f64_e32 v[4:5], 0x3ff40000, v[6:7]
	v_mul_f64 v[4:5], v[6:7], v[4:5]
	v_fma_f64 v[4:5], v[6:7], v[4:5], 1.0
	v_add_f64 v[8:9], -v[6:7], 1.0
	v_pk_mov_b32 v[6:7], v[28:29], v[28:29] op_sel:[0,1]
	v_fmac_f64_e32 v[6:7], 0x3ff40000, v[8:9]
	v_mul_f64 v[6:7], v[8:9], v[6:7]
	v_fma_f64 v[6:7], v[8:9], v[6:7], 1.0
	v_add_f64 v[8:9], v[8:9], 1.0
	v_pk_mov_b32 v[10:11], v[16:17], v[16:17] op_sel:[0,1]
	v_fmac_f64_e32 v[10:11], 0xbfe80000, v[8:9]
	v_fma_f64 v[10:11], v[8:9], v[10:11], v[26:27]
	v_fma_f64 v[8:9], v[8:9], v[10:11], v[0:1]
	v_add_f64 v[10:11], v[14:15], 1.0
	v_pk_mov_b32 v[12:13], v[16:17], v[16:17] op_sel:[0,1]
	v_fmac_f64_e32 v[12:13], 0xbfe80000, v[10:11]
	v_fma_f64 v[12:13], v[10:11], v[12:13], v[26:27]
	v_fma_f64 v[10:11], v[10:11], v[12:13], v[0:1]
	v_pk_mov_b32 v[12:13], v[28:29], v[28:29] op_sel:[0,1]
	v_fmac_f64_e32 v[12:13], 0x3ff40000, v[14:15]
	v_add_f64 v[30:31], -v[14:15], 1.0
	s_load_dwordx8 s[36:43], s[4:5], 0x90
	v_mul_f64 v[12:13], v[14:15], v[12:13]
	v_fmac_f64_e32 v[28:29], 0x3ff40000, v[30:31]
	v_fma_f64 v[12:13], v[14:15], v[12:13], 1.0
	v_mul_f64 v[14:15], v[30:31], v[28:29]
	v_add_f64 v[28:29], v[30:31], 1.0
	v_fmac_f64_e32 v[16:17], 0xbfe80000, v[28:29]
	v_fmac_f64_e32 v[26:27], v[28:29], v[16:17]
	v_ashrrev_i32_e32 v16, 31, v43
	s_waitcnt lgkmcnt(0)
	v_mul_lo_u32 v17, s41, v43
	v_mul_lo_u32 v16, s40, v16
	v_mad_u64_u32 v[32:33], s[2:3], s40, v43, 0
	v_add3_u32 v33, v33, v16, v17
	v_ashrrev_i32_e32 v16, 31, v42
	v_add_u32_e32 v37, -1, v36
	s_add_i32 s9, s30, -1
	v_mul_lo_u32 v17, s43, v42
	v_mul_lo_u32 v16, s42, v16
	v_mad_u64_u32 v[34:35], s[2:3], s42, v42, 0
	v_add3_u32 v35, v35, v16, v17
	v_min_i32_e32 v16, s9, v37
	v_fmac_f64_e32 v[0:1], v[28:29], v[26:27]
	v_max_i32_e32 v27, 0, v16
	v_mad_u64_u32 v[16:17], s[2:3], s24, v27, 0
	v_mov_b32_e32 v26, v17
	v_mad_u64_u32 v[26:27], s[2:3], s25, v27, v[26:27]
	v_mov_b32_e32 v17, v26
	v_min_i32_e32 v26, s9, v36
	v_max_i32_e32 v29, 0, v26
	v_mad_u64_u32 v[26:27], s[2:3], s24, v29, 0
	v_mov_b32_e32 v28, v27
	v_mad_u64_u32 v[28:29], s[2:3], s25, v29, v[28:29]
	v_mov_b32_e32 v27, v28
	v_add_u32_e32 v28, 1, v36
	v_min_i32_e32 v28, s9, v28
	v_fma_f64 v[14:15], v[30:31], v[14:15], 1.0
	v_max_i32_e32 v31, 0, v28
	v_mad_u64_u32 v[28:29], s[2:3], s24, v31, 0
	v_mov_b32_e32 v30, v29
	v_mad_u64_u32 v[30:31], s[2:3], s25, v31, v[30:31]
	s_abs_i32 s27, s28
	v_mov_b32_e32 v29, v30
	v_add_u32_e32 v30, 2, v36
	v_cvt_f32_u32_e32 v36, s27
	v_min_i32_e32 v30, s9, v30
	v_max_i32_e32 v37, 0, v30
	v_mad_u64_u32 v[30:31], s[2:3], s24, v37, 0
	v_rcp_iflag_f32_e32 v38, v36
	v_mov_b32_e32 v36, v31
	v_mad_u64_u32 v[36:37], s[2:3], s25, v37, v[36:37]
	v_mul_f32_e32 v31, 0x4f7ffffe, v38
	v_cvt_u32_f32_e32 v37, v31
	s_load_dwordx2 s[44:45], s[4:5], 0x20
	s_load_dwordx2 s[30:31], s[4:5], 0x68
	s_load_dword s26, s[34:35], 0x8
	s_sub_i32 s2, 0, s27
	v_readfirstlane_b32 s3, v37
	s_mul_i32 s2, s2, s3
	v_mov_b32_e32 v31, v36
	s_mul_hi_u32 s2, s3, s2
	s_ashr_i32 s24, s28, 31
	s_add_i32 s25, s3, s2
	s_sub_i32 s29, 0, s28
	v_lshlrev_b64 v[16:17], 3, v[16:17]
	v_lshlrev_b64 v[18:19], 3, v[18:19]
	;; [unrolled: 1-line block ×10, first 2 shown]
	s_mov_b32 s33, s7
.LBB0_4:                                ; =>This Inner Loop Header: Depth=1
	s_abs_i32 s3, s33
	s_mul_hi_u32 s8, s3, s25
	s_mul_i32 s9, s8, s27
	s_ashr_i32 s2, s33, 31
	s_sub_i32 s3, s3, s9
	s_xor_b32 s2, s2, s24
	s_add_i32 s10, s8, 1
	s_sub_i32 s9, s3, s27
	s_cmp_ge_u32 s3, s27
	s_cselect_b32 s8, s10, s8
	s_cselect_b32 s3, s9, s3
	s_add_i32 s9, s8, 1
	s_cmp_ge_u32 s3, s27
	s_cselect_b32 s3, s9, s8
	s_xor_b32 s3, s3, s2
	s_sub_i32 s40, s3, s2
	s_mul_i32 s3, s29, s40
	s_ashr_i32 s41, s40, 31
	s_mul_hi_u32 s8, s20, s40
	s_add_i32 s42, s33, s3
	s_mul_i32 s3, s20, s41
	s_mul_i32 s9, s21, s40
	s_add_i32 s3, s8, s3
	s_mul_i32 s2, s20, s40
	s_add_i32 s3, s3, s9
	s_lshl_b64 s[2:3], s[2:3], 3
	s_waitcnt lgkmcnt(0)
	s_add_u32 s12, s44, s2
	s_addc_u32 s13, s45, s3
	s_ashr_i32 s43, s42, 31
	s_mul_hi_u32 s10, s22, s42
	s_mul_i32 s2, s22, s43
	s_mul_i32 s11, s23, s42
	s_add_i32 s2, s10, s2
	s_mul_i32 s8, s22, s42
	s_add_i32 s9, s2, s11
	s_lshl_b64 s[2:3], s[8:9], 3
	s_add_u32 s10, s12, s2
	s_addc_u32 s12, s13, s3
	v_add_co_u32_e64 v54, s[8:9], s10, v16
	v_mov_b32_e32 v37, s12
	v_mov_b32_e32 v39, s12
	;; [unrolled: 1-line block ×4, first 2 shown]
	v_add_co_u32_e64 v36, s[12:13], v54, v20
	v_addc_co_u32_e64 v56, s[8:9], v37, v17, s[8:9]
	v_add_co_u32_e64 v44, s[18:19], v54, v18
	v_addc_co_u32_e64 v37, s[8:9], v56, v21, s[12:13]
	v_addc_co_u32_e64 v45, s[8:9], v56, v19, s[18:19]
	global_load_dwordx2 v[46:47], v[36:37], off
	global_load_dwordx2 v[48:49], v[44:45], off
	v_add_co_u32_e32 v52, vcc, s10, v26
	v_add_co_u32_e64 v38, s[14:15], v52, v20
	v_addc_co_u32_e32 v57, vcc, v39, v27, vcc
	v_add_co_u32_e64 v44, s[8:9], v52, v18
	v_addc_co_u32_e64 v39, vcc, v57, v21, s[14:15]
	v_addc_co_u32_e64 v45, vcc, v57, v19, s[8:9]
	v_add_co_u32_e64 v53, s[2:3], s10, v28
	v_add_co_u32_e64 v40, s[16:17], v53, v20
	v_addc_co_u32_e64 v58, s[2:3], v41, v29, s[2:3]
	v_add_co_u32_e64 v55, s[10:11], s10, v30
	v_addc_co_u32_e64 v59, s[2:3], v50, v31, s[10:11]
	s_mul_hi_u32 s3, s36, s40
	s_mul_i32 s10, s36, s41
	s_mul_i32 s9, s37, s40
	s_add_i32 s3, s3, s10
	s_mul_i32 s2, s36, s40
	s_add_i32 s3, s3, s9
	s_lshl_b64 s[2:3], s[2:3], 3
	s_mul_hi_u32 s11, s38, s42
	s_mul_i32 s13, s38, s43
	s_add_u32 s10, s30, s2
	s_mul_i32 s12, s39, s42
	s_addc_u32 s14, s31, s3
	s_add_i32 s2, s11, s13
	s_mul_i32 s8, s38, s42
	s_add_i32 s9, s2, s12
	s_lshl_b64 s[2:3], s[8:9], 3
	s_add_u32 s2, s10, s2
	s_addc_u32 s3, s14, s3
	s_add_i32 s33, s33, s26
	s_cmp_lt_i32 s33, s6
	s_waitcnt vmcnt(1)
	v_mul_f64 v[36:37], v[4:5], v[46:47]
	s_waitcnt vmcnt(0)
	v_fmac_f64_e32 v[36:37], v[2:3], v[48:49]
	global_load_dwordx2 v[46:47], v[38:39], off
	global_load_dwordx2 v[48:49], v[44:45], off
	v_add_co_u32_e32 v44, vcc, v53, v18
	v_addc_co_u32_e32 v45, vcc, v58, v19, vcc
	v_addc_co_u32_e64 v41, vcc, v58, v21, s[16:17]
	s_waitcnt vmcnt(1)
	v_mul_f64 v[38:39], v[4:5], v[46:47]
	s_waitcnt vmcnt(0)
	v_fmac_f64_e32 v[38:39], v[2:3], v[48:49]
	global_load_dwordx2 v[46:47], v[40:41], off
	global_load_dwordx2 v[48:49], v[44:45], off
	v_add_co_u32_e32 v44, vcc, v55, v18
	v_addc_co_u32_e32 v45, vcc, v59, v19, vcc
	s_waitcnt vmcnt(1)
	v_mul_f64 v[40:41], v[4:5], v[46:47]
	v_add_co_u32_e32 v46, vcc, v55, v20
	v_addc_co_u32_e32 v47, vcc, v59, v21, vcc
	s_waitcnt vmcnt(0)
	v_fmac_f64_e32 v[40:41], v[2:3], v[48:49]
	global_load_dwordx2 v[48:49], v[46:47], off
	global_load_dwordx2 v[50:51], v[44:45], off
	v_add_co_u32_e32 v46, vcc, v54, v22
	v_addc_co_u32_e32 v47, vcc, v56, v23, vcc
	global_load_dwordx2 v[46:47], v[46:47], off
	s_waitcnt vmcnt(2)
	v_mul_f64 v[44:45], v[4:5], v[48:49]
	s_waitcnt vmcnt(1)
	v_fmac_f64_e32 v[44:45], v[2:3], v[50:51]
	s_waitcnt vmcnt(0)
	v_fmac_f64_e32 v[36:37], v[6:7], v[46:47]
	v_add_co_u32_e32 v46, vcc, v52, v22
	v_addc_co_u32_e32 v47, vcc, v57, v23, vcc
	global_load_dwordx2 v[46:47], v[46:47], off
	s_waitcnt vmcnt(0)
	v_fmac_f64_e32 v[38:39], v[6:7], v[46:47]
	v_add_co_u32_e32 v46, vcc, v53, v22
	v_addc_co_u32_e32 v47, vcc, v58, v23, vcc
	global_load_dwordx2 v[46:47], v[46:47], off
	;; [unrolled: 5-line block ×3, first 2 shown]
	s_waitcnt vmcnt(0)
	v_fmac_f64_e32 v[44:45], v[6:7], v[46:47]
	v_add_co_u32_e32 v46, vcc, v54, v24
	v_addc_co_u32_e32 v47, vcc, v56, v25, vcc
	v_add_co_u32_e32 v48, vcc, v52, v24
	v_addc_co_u32_e32 v49, vcc, v57, v25, vcc
	;; [unrolled: 2-line block ×4, first 2 shown]
	global_load_dwordx2 v[54:55], v[46:47], off
	global_load_dwordx2 v[56:57], v[48:49], off
	;; [unrolled: 1-line block ×4, first 2 shown]
	v_add_co_u32_e32 v46, vcc, s2, v32
	v_mov_b32_e32 v47, s3
	v_add_co_u32_e64 v46, s[2:3], v46, v34
	v_addc_co_u32_e32 v47, vcc, v47, v33, vcc
	v_addc_co_u32_e64 v47, vcc, v47, v35, s[2:3]
	s_waitcnt vmcnt(3)
	v_fmac_f64_e32 v[36:37], v[8:9], v[54:55]
	s_waitcnt vmcnt(2)
	v_fmac_f64_e32 v[38:39], v[8:9], v[56:57]
	v_mul_f64 v[36:37], v[10:11], v[36:37]
	s_waitcnt vmcnt(1)
	v_fmac_f64_e32 v[40:41], v[8:9], v[58:59]
	v_fmac_f64_e32 v[36:37], v[12:13], v[38:39]
	s_waitcnt vmcnt(0)
	v_fmac_f64_e32 v[44:45], v[8:9], v[60:61]
	v_fmac_f64_e32 v[36:37], v[14:15], v[40:41]
	;; [unrolled: 1-line block ×3, first 2 shown]
	global_store_dwordx2 v[46:47], v[36:37], off
	s_cbranch_scc1 .LBB0_4
.LBB0_5:
	s_mov_b64 s[2:3], 0
.LBB0_6:
	s_andn2_b64 vcc, exec, s[2:3]
	s_cbranch_vccnz .LBB0_10
; %bb.7:
	s_and_b64 vcc, exec, s[0:1]
	s_cbranch_vccnz .LBB0_10
; %bb.8:
	s_load_dwordx8 s[8:15], s[4:5], 0x48
	s_load_dwordx2 s[0:1], s[4:5], 0x20
	s_load_dwordx2 s[2:3], s[4:5], 0x68
	s_load_dwordx8 s[16:23], s[4:5], 0x90
	v_ashrrev_i32_e32 v4, 31, v43
	s_waitcnt lgkmcnt(0)
	v_mul_lo_u32 v2, s13, v43
	v_mul_lo_u32 v3, s12, v4
	v_mad_u64_u32 v[0:1], s[12:13], s12, v43, 0
	v_ashrrev_i32_e32 v6, 31, v42
	v_add3_u32 v1, v1, v3, v2
	v_mul_lo_u32 v5, s15, v42
	v_mul_lo_u32 v7, s14, v6
	v_mad_u64_u32 v[2:3], s[4:5], s14, v42, 0
	v_add3_u32 v3, v3, v7, v5
	v_mul_lo_u32 v8, s20, v4
	v_mad_u64_u32 v[4:5], s[4:5], s20, v43, 0
	s_abs_i32 s4, s28
	v_cvt_f32_u32_e32 v9, s4
	v_mul_lo_u32 v7, s21, v43
	v_add3_u32 v5, v5, v8, v7
	v_mul_lo_u32 v8, s23, v42
	v_rcp_iflag_f32_e32 v9, v9
	v_mul_lo_u32 v10, s22, v6
	v_mad_u64_u32 v[6:7], s[12:13], s22, v42, 0
	v_add3_u32 v7, v7, v10, v8
	v_mul_f32_e32 v8, 0x4f7ffffe, v9
	v_cvt_u32_f32_e32 v8, v8
	s_load_dword s5, s[34:35], 0x8
	s_sub_i32 s13, 0, s4
	s_ashr_i32 s12, s28, 31
	v_readfirstlane_b32 s14, v8
	s_mul_i32 s13, s13, s14
	s_mul_hi_u32 s13, s14, s13
	s_add_i32 s13, s14, s13
	s_sub_i32 s14, 0, s28
	v_lshlrev_b64 v[0:1], 3, v[0:1]
	v_lshlrev_b64 v[2:3], 3, v[2:3]
	;; [unrolled: 1-line block ×4, first 2 shown]
.LBB0_9:                                ; =>This Inner Loop Header: Depth=1
	s_abs_i32 s20, s7
	s_mul_hi_u32 s21, s20, s13
	s_mul_i32 s22, s21, s4
	s_ashr_i32 s15, s7, 31
	s_sub_i32 s20, s20, s22
	s_xor_b32 s15, s15, s12
	s_add_i32 s23, s21, 1
	s_sub_i32 s22, s20, s4
	s_cmp_ge_u32 s20, s4
	s_cselect_b32 s21, s23, s21
	s_cselect_b32 s20, s22, s20
	s_add_i32 s22, s21, 1
	s_cmp_ge_u32 s20, s4
	s_cselect_b32 s20, s22, s21
	s_xor_b32 s20, s20, s15
	s_sub_i32 s15, s20, s15
	s_mul_i32 s21, s14, s15
	s_ashr_i32 s24, s15, 31
	s_mul_hi_u32 s22, s8, s15
	s_add_i32 s25, s7, s21
	s_mul_i32 s21, s8, s24
	s_mul_i32 s23, s9, s15
	s_add_i32 s21, s22, s21
	s_mul_i32 s20, s8, s15
	s_add_i32 s21, s21, s23
	s_lshl_b64 s[20:21], s[20:21], 3
	s_add_u32 s28, s0, s20
	s_addc_u32 s29, s1, s21
	s_ashr_i32 s30, s25, 31
	s_mul_hi_u32 s26, s10, s25
	s_mul_i32 s20, s10, s30
	s_mul_i32 s27, s11, s25
	s_add_i32 s20, s26, s20
	s_mul_i32 s22, s10, s25
	s_add_i32 s23, s20, s27
	s_lshl_b64 s[20:21], s[22:23], 3
	s_add_u32 s20, s28, s20
	s_addc_u32 s21, s29, s21
	v_mov_b32_e32 v8, s21
	v_add_co_u32_e32 v9, vcc, s20, v0
	v_addc_co_u32_e32 v10, vcc, v8, v1, vcc
	v_add_co_u32_e32 v8, vcc, v9, v2
	v_addc_co_u32_e32 v9, vcc, v10, v3, vcc
	global_load_dwordx2 v[8:9], v[8:9], off
	s_mul_hi_u32 s21, s16, s15
	s_mul_i32 s23, s17, s15
	s_mul_i32 s20, s16, s15
	;; [unrolled: 1-line block ×3, first 2 shown]
	s_add_i32 s15, s21, s15
	s_add_i32 s21, s15, s23
	s_lshl_b64 s[20:21], s[20:21], 3
	s_mul_hi_u32 s24, s18, s25
	s_mul_i32 s26, s19, s25
	s_mul_i32 s22, s18, s25
	;; [unrolled: 1-line block ×3, first 2 shown]
	s_add_u32 s15, s2, s20
	s_addc_u32 s27, s3, s21
	s_add_i32 s20, s24, s25
	s_add_i32 s23, s20, s26
	s_lshl_b64 s[20:21], s[22:23], 3
	s_add_u32 s15, s15, s20
	s_addc_u32 s20, s27, s21
	v_mov_b32_e32 v10, s20
	v_add_co_u32_e32 v11, vcc, s15, v4
	v_addc_co_u32_e32 v12, vcc, v10, v5, vcc
	s_waitcnt lgkmcnt(0)
	s_add_i32 s7, s7, s5
	v_add_co_u32_e32 v10, vcc, v11, v6
	s_cmp_ge_i32 s7, s6
	v_addc_co_u32_e32 v11, vcc, v12, v7, vcc
	s_waitcnt vmcnt(0)
	global_store_dwordx2 v[10:11], v[8:9], off
	s_cbranch_scc0 .LBB0_9
.LBB0_10:
	s_endpgm
	.section	.rodata,"a",@progbits
	.p2align	6, 0x0
	.amdhsa_kernel _ZN2at6native12_GLOBAL__N_137upsample_bicubic2d_out_frame_parallelIddEEviT0_S3_bN5torch10headeronly6detail27GenericPackedTensorAccessorINS6_14TensorAccessorIN3c108ArrayRefIlEEKT_Lm3ENS5_16DefaultPtrTraitsElEENS_6detail16IndexBoundsCheckILm4ElEESD_Lm4ESE_lEENS7_INS8_ISB_SC_Lm3ESE_lEESI_SC_Lm4ESE_lEE
		.amdhsa_group_segment_fixed_size 0
		.amdhsa_private_segment_fixed_size 0
		.amdhsa_kernarg_size 432
		.amdhsa_user_sgpr_count 6
		.amdhsa_user_sgpr_private_segment_buffer 1
		.amdhsa_user_sgpr_dispatch_ptr 0
		.amdhsa_user_sgpr_queue_ptr 0
		.amdhsa_user_sgpr_kernarg_segment_ptr 1
		.amdhsa_user_sgpr_dispatch_id 0
		.amdhsa_user_sgpr_flat_scratch_init 0
		.amdhsa_user_sgpr_kernarg_preload_length 0
		.amdhsa_user_sgpr_kernarg_preload_offset 0
		.amdhsa_user_sgpr_private_segment_size 0
		.amdhsa_uses_dynamic_stack 0
		.amdhsa_system_sgpr_private_segment_wavefront_offset 0
		.amdhsa_system_sgpr_workgroup_id_x 1
		.amdhsa_system_sgpr_workgroup_id_y 0
		.amdhsa_system_sgpr_workgroup_id_z 1
		.amdhsa_system_sgpr_workgroup_info 0
		.amdhsa_system_vgpr_workitem_id 0
		.amdhsa_next_free_vgpr 62
		.amdhsa_next_free_sgpr 46
		.amdhsa_accum_offset 64
		.amdhsa_reserve_vcc 1
		.amdhsa_reserve_flat_scratch 0
		.amdhsa_float_round_mode_32 0
		.amdhsa_float_round_mode_16_64 0
		.amdhsa_float_denorm_mode_32 3
		.amdhsa_float_denorm_mode_16_64 3
		.amdhsa_dx10_clamp 1
		.amdhsa_ieee_mode 1
		.amdhsa_fp16_overflow 0
		.amdhsa_tg_split 0
		.amdhsa_exception_fp_ieee_invalid_op 0
		.amdhsa_exception_fp_denorm_src 0
		.amdhsa_exception_fp_ieee_div_zero 0
		.amdhsa_exception_fp_ieee_overflow 0
		.amdhsa_exception_fp_ieee_underflow 0
		.amdhsa_exception_fp_ieee_inexact 0
		.amdhsa_exception_int_div_zero 0
	.end_amdhsa_kernel
	.section	.text._ZN2at6native12_GLOBAL__N_137upsample_bicubic2d_out_frame_parallelIddEEviT0_S3_bN5torch10headeronly6detail27GenericPackedTensorAccessorINS6_14TensorAccessorIN3c108ArrayRefIlEEKT_Lm3ENS5_16DefaultPtrTraitsElEENS_6detail16IndexBoundsCheckILm4ElEESD_Lm4ESE_lEENS7_INS8_ISB_SC_Lm3ESE_lEESI_SC_Lm4ESE_lEE,"axG",@progbits,_ZN2at6native12_GLOBAL__N_137upsample_bicubic2d_out_frame_parallelIddEEviT0_S3_bN5torch10headeronly6detail27GenericPackedTensorAccessorINS6_14TensorAccessorIN3c108ArrayRefIlEEKT_Lm3ENS5_16DefaultPtrTraitsElEENS_6detail16IndexBoundsCheckILm4ElEESD_Lm4ESE_lEENS7_INS8_ISB_SC_Lm3ESE_lEESI_SC_Lm4ESE_lEE,comdat
.Lfunc_end0:
	.size	_ZN2at6native12_GLOBAL__N_137upsample_bicubic2d_out_frame_parallelIddEEviT0_S3_bN5torch10headeronly6detail27GenericPackedTensorAccessorINS6_14TensorAccessorIN3c108ArrayRefIlEEKT_Lm3ENS5_16DefaultPtrTraitsElEENS_6detail16IndexBoundsCheckILm4ElEESD_Lm4ESE_lEENS7_INS8_ISB_SC_Lm3ESE_lEESI_SC_Lm4ESE_lEE, .Lfunc_end0-_ZN2at6native12_GLOBAL__N_137upsample_bicubic2d_out_frame_parallelIddEEviT0_S3_bN5torch10headeronly6detail27GenericPackedTensorAccessorINS6_14TensorAccessorIN3c108ArrayRefIlEEKT_Lm3ENS5_16DefaultPtrTraitsElEENS_6detail16IndexBoundsCheckILm4ElEESD_Lm4ESE_lEENS7_INS8_ISB_SC_Lm3ESE_lEESI_SC_Lm4ESE_lEE
                                        ; -- End function
	.section	.AMDGPU.csdata,"",@progbits
; Kernel info:
; codeLenInByte = 2712
; NumSgprs: 50
; NumVgprs: 62
; NumAgprs: 0
; TotalNumVgprs: 62
; ScratchSize: 0
; MemoryBound: 0
; FloatMode: 240
; IeeeMode: 1
; LDSByteSize: 0 bytes/workgroup (compile time only)
; SGPRBlocks: 6
; VGPRBlocks: 7
; NumSGPRsForWavesPerEU: 50
; NumVGPRsForWavesPerEU: 62
; AccumOffset: 64
; Occupancy: 8
; WaveLimiterHint : 1
; COMPUTE_PGM_RSRC2:SCRATCH_EN: 0
; COMPUTE_PGM_RSRC2:USER_SGPR: 6
; COMPUTE_PGM_RSRC2:TRAP_HANDLER: 0
; COMPUTE_PGM_RSRC2:TGID_X_EN: 1
; COMPUTE_PGM_RSRC2:TGID_Y_EN: 0
; COMPUTE_PGM_RSRC2:TGID_Z_EN: 1
; COMPUTE_PGM_RSRC2:TIDIG_COMP_CNT: 0
; COMPUTE_PGM_RSRC3_GFX90A:ACCUM_OFFSET: 15
; COMPUTE_PGM_RSRC3_GFX90A:TG_SPLIT: 0
	.section	.text._ZN2at6native12_GLOBAL__N_128upsample_bicubic2d_out_frameIddEEviT0_S3_bN5torch10headeronly6detail27GenericPackedTensorAccessorINS6_14TensorAccessorIN3c108ArrayRefIlEEKT_Lm3ENS5_16DefaultPtrTraitsElEENS_6detail16IndexBoundsCheckILm4ElEESD_Lm4ESE_lEENS7_INS8_ISB_SC_Lm3ESE_lEESI_SC_Lm4ESE_lEE,"axG",@progbits,_ZN2at6native12_GLOBAL__N_128upsample_bicubic2d_out_frameIddEEviT0_S3_bN5torch10headeronly6detail27GenericPackedTensorAccessorINS6_14TensorAccessorIN3c108ArrayRefIlEEKT_Lm3ENS5_16DefaultPtrTraitsElEENS_6detail16IndexBoundsCheckILm4ElEESD_Lm4ESE_lEENS7_INS8_ISB_SC_Lm3ESE_lEESI_SC_Lm4ESE_lEE,comdat
	.globl	_ZN2at6native12_GLOBAL__N_128upsample_bicubic2d_out_frameIddEEviT0_S3_bN5torch10headeronly6detail27GenericPackedTensorAccessorINS6_14TensorAccessorIN3c108ArrayRefIlEEKT_Lm3ENS5_16DefaultPtrTraitsElEENS_6detail16IndexBoundsCheckILm4ElEESD_Lm4ESE_lEENS7_INS8_ISB_SC_Lm3ESE_lEESI_SC_Lm4ESE_lEE ; -- Begin function _ZN2at6native12_GLOBAL__N_128upsample_bicubic2d_out_frameIddEEviT0_S3_bN5torch10headeronly6detail27GenericPackedTensorAccessorINS6_14TensorAccessorIN3c108ArrayRefIlEEKT_Lm3ENS5_16DefaultPtrTraitsElEENS_6detail16IndexBoundsCheckILm4ElEESD_Lm4ESE_lEENS7_INS8_ISB_SC_Lm3ESE_lEESI_SC_Lm4ESE_lEE
	.p2align	8
	.type	_ZN2at6native12_GLOBAL__N_128upsample_bicubic2d_out_frameIddEEviT0_S3_bN5torch10headeronly6detail27GenericPackedTensorAccessorINS6_14TensorAccessorIN3c108ArrayRefIlEEKT_Lm3ENS5_16DefaultPtrTraitsElEENS_6detail16IndexBoundsCheckILm4ElEESD_Lm4ESE_lEENS7_INS8_ISB_SC_Lm3ESE_lEESI_SC_Lm4ESE_lEE,@function
_ZN2at6native12_GLOBAL__N_128upsample_bicubic2d_out_frameIddEEviT0_S3_bN5torch10headeronly6detail27GenericPackedTensorAccessorINS6_14TensorAccessorIN3c108ArrayRefIlEEKT_Lm3ENS5_16DefaultPtrTraitsElEENS_6detail16IndexBoundsCheckILm4ElEESD_Lm4ESE_lEENS7_INS8_ISB_SC_Lm3ESE_lEESI_SC_Lm4ESE_lEE: ; @_ZN2at6native12_GLOBAL__N_128upsample_bicubic2d_out_frameIddEEviT0_S3_bN5torch10headeronly6detail27GenericPackedTensorAccessorINS6_14TensorAccessorIN3c108ArrayRefIlEEKT_Lm3ENS5_16DefaultPtrTraitsElEENS_6detail16IndexBoundsCheckILm4ElEESD_Lm4ESE_lEENS7_INS8_ISB_SC_Lm3ESE_lEESI_SC_Lm4ESE_lEE
; %bb.0:
	s_load_dword s0, s[4:5], 0xbc
	s_load_dword s1, s[4:5], 0x0
	s_waitcnt lgkmcnt(0)
	s_and_b32 s0, s0, 0xffff
	s_mul_i32 s6, s6, s0
	v_add_u32_e32 v0, s6, v0
	v_cmp_gt_i32_e32 vcc, s1, v0
	s_and_saveexec_b64 s[0:1], vcc
	s_cbranch_execz .LBB1_14
; %bb.1:
	s_load_dwordx4 s[0:3], s[4:5], 0x80
	v_sub_u32_e32 v2, 0, v0
	v_max_i32_e32 v2, v0, v2
	s_load_dwordx8 s[24:31], s[4:5], 0x28
	s_waitcnt lgkmcnt(0)
	s_abs_i32 s3, s2
	v_cvt_f32_u32_e32 v1, s3
	s_sub_i32 s6, 0, s3
	v_xor_b32_e32 v3, s2, v0
	v_ashrrev_i32_e32 v3, 31, v3
	v_rcp_iflag_f32_e32 v1, v1
	s_cmp_lg_u32 s28, s0
	s_cselect_b64 s[0:1], -1, 0
	s_cmp_lg_u32 s30, s2
	v_mul_f32_e32 v1, 0x4f7ffffe, v1
	v_cvt_u32_f32_e32 v1, v1
	v_mul_lo_u32 v4, s6, v1
	v_mul_hi_u32 v4, v1, v4
	v_add_u32_e32 v1, v1, v4
	v_mul_hi_u32 v1, v2, v1
	v_mul_lo_u32 v4, v1, s3
	v_sub_u32_e32 v2, v2, v4
	v_add_u32_e32 v5, 1, v1
	v_cmp_le_u32_e32 vcc, s3, v2
	v_subrev_u32_e32 v4, s3, v2
	v_cndmask_b32_e32 v1, v1, v5, vcc
	v_cndmask_b32_e32 v2, v2, v4, vcc
	v_add_u32_e32 v4, 1, v1
	v_cmp_le_u32_e32 vcc, s3, v2
	v_cndmask_b32_e32 v1, v1, v4, vcc
	v_xor_b32_e32 v1, v1, v3
	v_sub_u32_e32 v31, v1, v3
	v_mul_lo_u32 v1, v31, s2
	s_cselect_b64 s[2:3], -1, 0
	s_or_b64 s[2:3], s[2:3], s[0:1]
	s_cmp_gt_i32 s24, 0
	v_sub_u32_e32 v30, v0, v1
	s_mov_b64 s[0:1], -1
	s_cselect_b64 s[34:35], -1, 0
	s_and_b64 vcc, exec, s[2:3]
	s_cbranch_vccz .LBB1_8
; %bb.2:
	s_andn2_b64 vcc, exec, s[34:35]
	s_cbranch_vccnz .LBB1_7
; %bb.3:
	s_load_dword s6, s[4:5], 0x18
	s_load_dwordx4 s[0:3], s[4:5], 0x8
	v_cvt_f64_i32_e32 v[0:1], v31
	v_add_f64 v[2:3], v[0:1], 0.5
	v_mov_b32_e32 v16, 0
	s_waitcnt lgkmcnt(0)
	s_bitcmp1_b32 s6, 0
	v_mul_f64 v[0:1], v[0:1], s[0:1]
	v_fma_f64 v[2:3], v[2:3], s[0:1], -0.5
	s_cselect_b64 vcc, -1, 0
	v_cndmask_b32_e32 v1, v3, v1, vcc
	v_cndmask_b32_e32 v0, v2, v0, vcc
	v_cvt_f32_f64_e32 v2, v[0:1]
	v_floor_f32_e32 v2, v2
	v_cvt_i32_f32_e32 v24, v2
	v_cvt_f64_i32_e32 v[2:3], v30
	v_mul_f64 v[4:5], v[2:3], s[2:3]
	v_add_f64 v[2:3], v[2:3], 0.5
	v_fma_f64 v[2:3], v[2:3], s[2:3], -0.5
	v_cndmask_b32_e32 v3, v3, v5, vcc
	v_cndmask_b32_e32 v2, v2, v4, vcc
	v_cvt_f32_f64_e32 v4, v[2:3]
	v_floor_f32_e32 v4, v4
	v_cvt_i32_f32_e32 v8, v4
	v_cvt_f64_i32_e32 v[4:5], v24
	v_add_f64 v[14:15], v[0:1], -v[4:5]
	s_cmp_gt_i32 s26, 0
	v_cvt_f64_i32_e32 v[0:1], v8
	v_add_f64 v[6:7], v[2:3], -v[0:1]
	s_cselect_b64 s[38:39], -1, 0
	v_add_u32_e32 v0, -1, v8
	s_add_i32 s2, s30, -1
	v_min_i32_e32 v0, s2, v0
	v_max_i32_e32 v26, 0, v0
	v_min_i32_e32 v0, s2, v8
	v_max_i32_e32 v27, 0, v0
	v_add_u32_e32 v0, 1, v8
	v_min_i32_e32 v0, s2, v0
	v_max_i32_e32 v28, 0, v0
	v_add_u32_e32 v0, 2, v8
	v_min_i32_e32 v0, s2, v0
	v_mov_b32_e32 v17, 0x400e0000
	v_max_i32_e32 v29, 0, v0
	v_add_f64 v[2:3], v[6:7], 1.0
	v_pk_mov_b32 v[0:1], v[16:17], v[16:17] op_sel:[0,1]
	v_mov_b32_e32 v18, 0
	v_fmac_f64_e32 v[0:1], 0xbfe80000, v[2:3]
	v_mov_b32_e32 v19, 0xc0180000
	v_fma_f64 v[4:5], v[2:3], v[0:1], v[18:19]
	v_mov_b32_e32 v0, 0
	v_mov_b32_e32 v20, 0
	;; [unrolled: 1-line block ×4, first 2 shown]
	v_fma_f64 v[2:3], v[2:3], v[4:5], v[0:1]
	v_pk_mov_b32 v[4:5], v[20:21], v[20:21] op_sel:[0,1]
	v_fmac_f64_e32 v[4:5], 0x3ff40000, v[6:7]
	v_mul_f64 v[4:5], v[6:7], v[4:5]
	v_fma_f64 v[4:5], v[6:7], v[4:5], 1.0
	v_add_f64 v[8:9], -v[6:7], 1.0
	v_pk_mov_b32 v[6:7], v[20:21], v[20:21] op_sel:[0,1]
	v_fmac_f64_e32 v[6:7], 0x3ff40000, v[8:9]
	v_mul_f64 v[6:7], v[8:9], v[6:7]
	v_fma_f64 v[6:7], v[8:9], v[6:7], 1.0
	v_add_f64 v[8:9], v[8:9], 1.0
	v_pk_mov_b32 v[10:11], v[16:17], v[16:17] op_sel:[0,1]
	v_fmac_f64_e32 v[10:11], 0xbfe80000, v[8:9]
	v_fma_f64 v[10:11], v[8:9], v[10:11], v[18:19]
	v_fma_f64 v[8:9], v[8:9], v[10:11], v[0:1]
	v_add_f64 v[10:11], v[14:15], 1.0
	v_pk_mov_b32 v[12:13], v[16:17], v[16:17] op_sel:[0,1]
	v_fmac_f64_e32 v[12:13], 0xbfe80000, v[10:11]
	v_fma_f64 v[12:13], v[10:11], v[12:13], v[18:19]
	v_fma_f64 v[10:11], v[10:11], v[12:13], v[0:1]
	v_pk_mov_b32 v[12:13], v[20:21], v[20:21] op_sel:[0,1]
	v_fmac_f64_e32 v[12:13], 0x3ff40000, v[14:15]
	v_add_f64 v[22:23], -v[14:15], 1.0
	s_load_dwordx8 s[16:23], s[4:5], 0x90
	v_mul_f64 v[12:13], v[14:15], v[12:13]
	v_fmac_f64_e32 v[20:21], 0x3ff40000, v[22:23]
	v_fma_f64 v[12:13], v[14:15], v[12:13], 1.0
	v_mul_f64 v[14:15], v[22:23], v[20:21]
	v_add_f64 v[20:21], v[22:23], 1.0
	s_load_dwordx8 s[8:15], s[4:5], 0x48
	s_load_dwordx2 s[0:1], s[4:5], 0x68
	v_fmac_f64_e32 v[16:17], 0xbfe80000, v[20:21]
	v_fmac_f64_e32 v[18:19], v[20:21], v[16:17]
	v_ashrrev_i32_e32 v16, 31, v31
	v_fmac_f64_e32 v[0:1], v[20:21], v[18:19]
	s_waitcnt lgkmcnt(0)
	v_mul_lo_u32 v18, s21, v31
	v_mul_lo_u32 v19, s20, v16
	v_mad_u64_u32 v[16:17], s[2:3], s20, v31, 0
	v_add3_u32 v17, v17, v19, v18
	v_lshlrev_b64 v[16:17], 3, v[16:17]
	v_mov_b32_e32 v18, s1
	v_add_co_u32_e32 v19, vcc, s0, v16
	v_ashrrev_i32_e32 v16, 31, v30
	v_addc_co_u32_e32 v18, vcc, v18, v17, vcc
	v_mul_lo_u32 v20, s23, v30
	v_mul_lo_u32 v21, s22, v16
	v_mad_u64_u32 v[16:17], s[0:1], s22, v30, 0
	v_add3_u32 v17, v17, v21, v20
	v_lshlrev_b64 v[16:17], 3, v[16:17]
	v_add_u32_e32 v25, -1, v24
	s_add_i32 s6, s28, -1
	v_add_co_u32_e32 v16, vcc, v19, v16
	v_addc_co_u32_e32 v17, vcc, v18, v17, vcc
	v_min_i32_e32 v18, s6, v25
	v_max_i32_e32 v21, 0, v18
	v_min_i32_e32 v18, s6, v24
	v_max_i32_e32 v40, 0, v18
	v_add_u32_e32 v18, 1, v24
	v_min_i32_e32 v18, s6, v18
	v_max_i32_e32 v48, 0, v18
	v_add_u32_e32 v18, 2, v24
	v_min_i32_e32 v18, s6, v18
	v_max_i32_e32 v56, 0, v18
	v_mad_u64_u32 v[18:19], s[0:1], s12, v21, 0
	v_mov_b32_e32 v20, v19
	v_mad_u64_u32 v[20:21], s[0:1], s13, v21, v[20:21]
	v_mov_b32_e32 v19, v20
	v_mad_u64_u32 v[20:21], s[0:1], s14, v26, 0
	v_fma_f64 v[14:15], v[22:23], v[14:15], 1.0
	v_mov_b32_e32 v22, v21
	v_mad_u64_u32 v[22:23], s[0:1], s15, v26, v[22:23]
	v_mov_b32_e32 v21, v22
	v_mad_u64_u32 v[22:23], s[0:1], s14, v27, 0
	;; [unrolled: 2-line block ×4, first 2 shown]
	v_lshlrev_b64 v[18:19], 3, v[18:19]
	v_lshlrev_b64 v[20:21], 3, v[20:21]
	v_mov_b32_e32 v26, v25
	v_add_co_u32_e32 v32, vcc, v18, v20
	v_mad_u64_u32 v[26:27], s[0:1], s15, v28, v[26:27]
	v_addc_co_u32_e32 v33, vcc, v19, v21, vcc
	v_lshlrev_b64 v[22:23], 3, v[22:23]
	v_mov_b32_e32 v25, v26
	v_mad_u64_u32 v[26:27], s[0:1], s14, v29, 0
	v_add_co_u32_e32 v34, vcc, v22, v18
	v_mov_b32_e32 v28, v27
	v_addc_co_u32_e32 v35, vcc, v23, v19, vcc
	v_lshlrev_b64 v[24:25], 3, v[24:25]
	v_mad_u64_u32 v[28:29], s[0:1], s15, v29, v[28:29]
	v_add_co_u32_e32 v36, vcc, v18, v24
	v_mov_b32_e32 v27, v28
	v_addc_co_u32_e32 v37, vcc, v19, v25, vcc
	v_lshlrev_b64 v[26:27], 3, v[26:27]
	v_add_co_u32_e32 v38, vcc, v18, v26
	v_addc_co_u32_e32 v39, vcc, v19, v27, vcc
	v_mad_u64_u32 v[18:19], s[0:1], s12, v40, 0
	v_mov_b32_e32 v28, v19
	v_mad_u64_u32 v[28:29], s[0:1], s13, v40, v[28:29]
	v_mov_b32_e32 v19, v28
	v_lshlrev_b64 v[18:19], 3, v[18:19]
	v_add_co_u32_e32 v40, vcc, v18, v20
	v_addc_co_u32_e32 v41, vcc, v19, v21, vcc
	v_add_co_u32_e32 v42, vcc, v18, v22
	v_addc_co_u32_e32 v43, vcc, v19, v23, vcc
	;; [unrolled: 2-line block ×4, first 2 shown]
	v_mad_u64_u32 v[18:19], s[0:1], s12, v48, 0
	v_mov_b32_e32 v28, v19
	v_mad_u64_u32 v[28:29], s[0:1], s13, v48, v[28:29]
	v_mov_b32_e32 v19, v28
	v_lshlrev_b64 v[18:19], 3, v[18:19]
	v_add_co_u32_e32 v48, vcc, v20, v18
	v_addc_co_u32_e32 v49, vcc, v21, v19, vcc
	v_add_co_u32_e32 v50, vcc, v22, v18
	v_addc_co_u32_e32 v51, vcc, v23, v19, vcc
	v_add_co_u32_e32 v52, vcc, v18, v24
	v_addc_co_u32_e32 v53, vcc, v19, v25, vcc
	v_add_co_u32_e32 v54, vcc, v26, v18
	v_addc_co_u32_e32 v55, vcc, v27, v19, vcc
	v_mad_u64_u32 v[18:19], s[0:1], s12, v56, 0
	v_mov_b32_e32 v28, v19
	v_mad_u64_u32 v[28:29], s[0:1], s13, v56, v[28:29]
	v_mov_b32_e32 v19, v28
	v_lshlrev_b64 v[18:19], 3, v[18:19]
	v_add_co_u32_e32 v56, vcc, v20, v18
	v_addc_co_u32_e32 v57, vcc, v21, v19, vcc
	v_add_co_u32_e32 v58, vcc, v22, v18
	s_load_dwordx2 s[36:37], s[4:5], 0x20
	v_addc_co_u32_e32 v59, vcc, v23, v19, vcc
	v_add_co_u32_e32 v60, vcc, v18, v24
	v_addc_co_u32_e32 v61, vcc, v19, v25, vcc
	v_add_co_u32_e32 v62, vcc, v18, v26
	s_mov_b32 s25, 0
	s_lshl_b64 s[28:29], s[16:17], 3
	s_lshl_b64 s[30:31], s[18:19], 3
	;; [unrolled: 1-line block ×4, first 2 shown]
	v_addc_co_u32_e32 v63, vcc, v19, v27, vcc
	s_branch .LBB1_5
.LBB1_4:                                ;   in Loop: Header=BB1_5 Depth=1
	s_add_i32 s25, s25, 1
	s_add_u32 s36, s36, s40
	v_mov_b32_e32 v18, s29
	s_addc_u32 s37, s37, s41
	v_add_co_u32_e32 v16, vcc, s28, v16
	s_cmp_lg_u32 s25, s24
	v_addc_co_u32_e32 v17, vcc, v17, v18, vcc
	s_cbranch_scc0 .LBB1_7
.LBB1_5:                                ; =>This Loop Header: Depth=1
                                        ;     Child Loop BB1_6 Depth 2
	s_andn2_b64 vcc, exec, s[38:39]
	s_waitcnt lgkmcnt(0)
	s_mov_b64 s[44:45], s[36:37]
	v_pk_mov_b32 v[18:19], v[16:17], v[16:17] op_sel:[0,1]
	s_mov_b32 s27, s26
	s_cbranch_vccnz .LBB1_4
.LBB1_6:                                ;   Parent Loop BB1_5 Depth=1
                                        ; =>  This Inner Loop Header: Depth=2
	v_mov_b32_e32 v79, s45
	v_add_co_u32_e32 v20, vcc, s44, v34
	v_add_co_u32_e64 v24, s[0:1], s44, v36
	v_add_co_u32_e64 v22, s[2:3], s44, v38
	;; [unrolled: 1-line block ×3, first 2 shown]
	v_addc_co_u32_e64 v77, s[22:23], v79, v33, s[22:23]
	v_addc_co_u32_e32 v21, vcc, v79, v35, vcc
	v_addc_co_u32_e64 v25, vcc, v79, v37, s[0:1]
	v_addc_co_u32_e64 v23, vcc, v79, v39, s[2:3]
	global_load_dwordx2 v[24:25], v[24:25], off
	s_nop 0
	global_load_dwordx2 v[22:23], v[22:23], off
	s_nop 0
	;; [unrolled: 2-line block ×3, first 2 shown]
	global_load_dwordx2 v[76:77], v[76:77], off
	v_add_co_u32_e64 v26, s[6:7], s44, v42
	v_add_co_u32_e64 v28, s[8:9], s44, v44
	;; [unrolled: 1-line block ×8, first 2 shown]
	s_add_i32 s27, s27, -1
	s_waitcnt vmcnt(1)
	v_mul_f64 v[20:21], v[4:5], v[20:21]
	s_waitcnt vmcnt(0)
	v_fmac_f64_e32 v[20:21], v[2:3], v[76:77]
	v_add_co_u32_e32 v76, vcc, s44, v40
	v_addc_co_u32_e32 v77, vcc, v79, v41, vcc
	v_addc_co_u32_e64 v27, vcc, v79, v43, s[6:7]
	v_addc_co_u32_e64 v29, vcc, v79, v45, s[8:9]
	;; [unrolled: 1-line block ×3, first 2 shown]
	global_load_dwordx2 v[28:29], v[28:29], off
	s_nop 0
	global_load_dwordx2 v[64:65], v[64:65], off
	s_nop 0
	global_load_dwordx2 v[26:27], v[26:27], off
	s_nop 0
	global_load_dwordx2 v[76:77], v[76:77], off
	v_fmac_f64_e32 v[20:21], v[6:7], v[24:25]
	v_fmac_f64_e32 v[20:21], v[8:9], v[22:23]
	v_mul_f64 v[20:21], v[10:11], v[20:21]
	s_waitcnt vmcnt(1)
	v_mul_f64 v[26:27], v[4:5], v[26:27]
	s_waitcnt vmcnt(0)
	v_fmac_f64_e32 v[26:27], v[2:3], v[76:77]
	v_add_co_u32_e32 v76, vcc, s44, v48
	v_addc_co_u32_e32 v77, vcc, v79, v49, vcc
	v_addc_co_u32_e64 v67, vcc, v79, v51, s[12:13]
	v_addc_co_u32_e64 v71, vcc, v79, v53, s[16:17]
	v_addc_co_u32_e64 v73, vcc, v79, v55, s[18:19]
	global_load_dwordx2 v[70:71], v[70:71], off
	s_nop 0
	global_load_dwordx2 v[72:73], v[72:73], off
	s_nop 0
	;; [unrolled: 2-line block ×3, first 2 shown]
	global_load_dwordx2 v[76:77], v[76:77], off
	v_fmac_f64_e32 v[26:27], v[6:7], v[28:29]
	v_fmac_f64_e32 v[26:27], v[8:9], v[64:65]
	;; [unrolled: 1-line block ×3, first 2 shown]
	s_waitcnt vmcnt(1)
	v_mul_f64 v[66:67], v[4:5], v[66:67]
	s_waitcnt vmcnt(0)
	v_fmac_f64_e32 v[66:67], v[2:3], v[76:77]
	v_add_co_u32_e32 v76, vcc, s44, v56
	v_addc_co_u32_e32 v77, vcc, v79, v57, vcc
	v_addc_co_u32_e64 v69, vcc, v79, v59, s[14:15]
	v_addc_co_u32_e64 v75, vcc, v79, v61, s[20:21]
	v_add_co_u32_e32 v78, vcc, s44, v62
	v_addc_co_u32_e32 v79, vcc, v79, v63, vcc
	global_load_dwordx2 v[74:75], v[74:75], off
	s_nop 0
	global_load_dwordx2 v[78:79], v[78:79], off
	s_nop 0
	;; [unrolled: 2-line block ×3, first 2 shown]
	global_load_dwordx2 v[76:77], v[76:77], off
	v_fmac_f64_e32 v[66:67], v[6:7], v[70:71]
	v_fmac_f64_e32 v[66:67], v[8:9], v[72:73]
	;; [unrolled: 1-line block ×3, first 2 shown]
	s_add_u32 s44, s44, s42
	s_addc_u32 s45, s45, s43
	s_cmp_lg_u32 s27, 0
	s_waitcnt vmcnt(1)
	v_mul_f64 v[68:69], v[4:5], v[68:69]
	s_waitcnt vmcnt(0)
	v_fmac_f64_e32 v[68:69], v[2:3], v[76:77]
	v_fmac_f64_e32 v[68:69], v[6:7], v[74:75]
	;; [unrolled: 1-line block ×4, first 2 shown]
	v_mov_b32_e32 v76, s31
	global_store_dwordx2 v[18:19], v[20:21], off
	v_add_co_u32_e32 v18, vcc, s30, v18
	v_addc_co_u32_e32 v19, vcc, v19, v76, vcc
	s_cbranch_scc1 .LBB1_6
	s_branch .LBB1_4
.LBB1_7:
	s_mov_b64 s[0:1], 0
.LBB1_8:
	s_andn2_b64 vcc, exec, s[0:1]
	s_cbranch_vccnz .LBB1_14
; %bb.9:
	s_andn2_b64 vcc, exec, s[34:35]
	s_cbranch_vccnz .LBB1_14
; %bb.10:
	s_load_dwordx8 s[8:15], s[4:5], 0x48
	s_load_dwordx2 s[0:1], s[4:5], 0x20
	s_load_dwordx2 s[2:3], s[4:5], 0x68
	v_ashrrev_i32_e32 v2, 31, v31
	v_ashrrev_i32_e32 v5, 31, v30
	s_load_dwordx8 s[36:43], s[4:5], 0x90
	s_waitcnt lgkmcnt(0)
	v_mul_lo_u32 v3, s13, v31
	v_mul_lo_u32 v4, s12, v2
	v_mad_u64_u32 v[0:1], s[6:7], s12, v31, 0
	v_add3_u32 v1, v1, v4, v3
	v_lshlrev_b64 v[0:1], 3, v[0:1]
	v_mov_b32_e32 v3, s1
	v_add_co_u32_e32 v4, vcc, s0, v0
	v_addc_co_u32_e32 v3, vcc, v3, v1, vcc
	v_mul_lo_u32 v6, s15, v30
	v_mul_lo_u32 v7, s14, v5
	v_mad_u64_u32 v[0:1], s[0:1], s14, v30, 0
	v_add3_u32 v1, v1, v7, v6
	v_lshlrev_b64 v[0:1], 3, v[0:1]
	v_add_co_u32_e32 v0, vcc, v4, v0
	v_addc_co_u32_e32 v1, vcc, v3, v1, vcc
	v_mul_lo_u32 v4, s41, v31
	v_mul_lo_u32 v6, s40, v2
	v_mad_u64_u32 v[2:3], s[0:1], s40, v31, 0
	v_add3_u32 v3, v3, v6, v4
	v_lshlrev_b64 v[2:3], 3, v[2:3]
	v_mov_b32_e32 v4, s3
	v_add_co_u32_e32 v6, vcc, s2, v2
	v_addc_co_u32_e32 v4, vcc, v4, v3, vcc
	v_mul_lo_u32 v7, s43, v30
	v_mul_lo_u32 v5, s42, v5
	v_mad_u64_u32 v[2:3], s[0:1], s42, v30, 0
	v_add3_u32 v3, v3, v5, v7
	s_cmp_gt_i32 s26, 0
	v_lshlrev_b64 v[2:3], 3, v[2:3]
	v_add_co_u32_e32 v2, vcc, v6, v2
	s_cselect_b64 s[0:1], -1, 0
	v_addc_co_u32_e32 v3, vcc, v4, v3, vcc
	s_lshl_b64 s[2:3], s[36:37], 3
	s_lshl_b64 s[6:7], s[8:9], 3
	v_cndmask_b32_e64 v4, 0, 1, s[0:1]
	s_mov_b32 s16, 0
	s_lshl_b64 s[4:5], s[38:39], 3
	s_lshl_b64 s[8:9], s[10:11], 3
	v_cmp_ne_u32_e64 s[0:1], 1, v4
	v_mov_b32_e32 v8, s3
	v_mov_b32_e32 v9, s7
	s_branch .LBB1_12
.LBB1_11:                               ;   in Loop: Header=BB1_12 Depth=1
	v_add_co_u32_e32 v2, vcc, s2, v2
	v_addc_co_u32_e32 v3, vcc, v3, v8, vcc
	s_add_i32 s16, s16, 1
	v_add_co_u32_e32 v0, vcc, s6, v0
	s_cmp_eq_u32 s16, s24
	v_addc_co_u32_e32 v1, vcc, v1, v9, vcc
	s_cbranch_scc1 .LBB1_14
.LBB1_12:                               ; =>This Loop Header: Depth=1
                                        ;     Child Loop BB1_13 Depth 2
	s_and_b64 vcc, exec, s[0:1]
	v_pk_mov_b32 v[4:5], v[0:1], v[0:1] op_sel:[0,1]
	v_pk_mov_b32 v[6:7], v[2:3], v[2:3] op_sel:[0,1]
	s_mov_b32 s3, s26
	s_cbranch_vccnz .LBB1_11
.LBB1_13:                               ;   Parent Loop BB1_12 Depth=1
                                        ; =>  This Inner Loop Header: Depth=2
	global_load_dwordx2 v[10:11], v[4:5], off
	v_mov_b32_e32 v13, s9
	v_add_co_u32_e32 v4, vcc, s8, v4
	v_addc_co_u32_e32 v5, vcc, v5, v13, vcc
	s_add_i32 s3, s3, -1
	v_mov_b32_e32 v12, s5
	s_cmp_eq_u32 s3, 0
	s_waitcnt vmcnt(0)
	global_store_dwordx2 v[6:7], v[10:11], off
	v_add_co_u32_e32 v6, vcc, s4, v6
	v_addc_co_u32_e32 v7, vcc, v7, v12, vcc
	s_cbranch_scc0 .LBB1_13
	s_branch .LBB1_11
.LBB1_14:
	s_endpgm
	.section	.rodata,"a",@progbits
	.p2align	6, 0x0
	.amdhsa_kernel _ZN2at6native12_GLOBAL__N_128upsample_bicubic2d_out_frameIddEEviT0_S3_bN5torch10headeronly6detail27GenericPackedTensorAccessorINS6_14TensorAccessorIN3c108ArrayRefIlEEKT_Lm3ENS5_16DefaultPtrTraitsElEENS_6detail16IndexBoundsCheckILm4ElEESD_Lm4ESE_lEENS7_INS8_ISB_SC_Lm3ESE_lEESI_SC_Lm4ESE_lEE
		.amdhsa_group_segment_fixed_size 0
		.amdhsa_private_segment_fixed_size 0
		.amdhsa_kernarg_size 432
		.amdhsa_user_sgpr_count 6
		.amdhsa_user_sgpr_private_segment_buffer 1
		.amdhsa_user_sgpr_dispatch_ptr 0
		.amdhsa_user_sgpr_queue_ptr 0
		.amdhsa_user_sgpr_kernarg_segment_ptr 1
		.amdhsa_user_sgpr_dispatch_id 0
		.amdhsa_user_sgpr_flat_scratch_init 0
		.amdhsa_user_sgpr_kernarg_preload_length 0
		.amdhsa_user_sgpr_kernarg_preload_offset 0
		.amdhsa_user_sgpr_private_segment_size 0
		.amdhsa_uses_dynamic_stack 0
		.amdhsa_system_sgpr_private_segment_wavefront_offset 0
		.amdhsa_system_sgpr_workgroup_id_x 1
		.amdhsa_system_sgpr_workgroup_id_y 0
		.amdhsa_system_sgpr_workgroup_id_z 0
		.amdhsa_system_sgpr_workgroup_info 0
		.amdhsa_system_vgpr_workitem_id 0
		.amdhsa_next_free_vgpr 80
		.amdhsa_next_free_sgpr 46
		.amdhsa_accum_offset 80
		.amdhsa_reserve_vcc 1
		.amdhsa_reserve_flat_scratch 0
		.amdhsa_float_round_mode_32 0
		.amdhsa_float_round_mode_16_64 0
		.amdhsa_float_denorm_mode_32 3
		.amdhsa_float_denorm_mode_16_64 3
		.amdhsa_dx10_clamp 1
		.amdhsa_ieee_mode 1
		.amdhsa_fp16_overflow 0
		.amdhsa_tg_split 0
		.amdhsa_exception_fp_ieee_invalid_op 0
		.amdhsa_exception_fp_denorm_src 0
		.amdhsa_exception_fp_ieee_div_zero 0
		.amdhsa_exception_fp_ieee_overflow 0
		.amdhsa_exception_fp_ieee_underflow 0
		.amdhsa_exception_fp_ieee_inexact 0
		.amdhsa_exception_int_div_zero 0
	.end_amdhsa_kernel
	.section	.text._ZN2at6native12_GLOBAL__N_128upsample_bicubic2d_out_frameIddEEviT0_S3_bN5torch10headeronly6detail27GenericPackedTensorAccessorINS6_14TensorAccessorIN3c108ArrayRefIlEEKT_Lm3ENS5_16DefaultPtrTraitsElEENS_6detail16IndexBoundsCheckILm4ElEESD_Lm4ESE_lEENS7_INS8_ISB_SC_Lm3ESE_lEESI_SC_Lm4ESE_lEE,"axG",@progbits,_ZN2at6native12_GLOBAL__N_128upsample_bicubic2d_out_frameIddEEviT0_S3_bN5torch10headeronly6detail27GenericPackedTensorAccessorINS6_14TensorAccessorIN3c108ArrayRefIlEEKT_Lm3ENS5_16DefaultPtrTraitsElEENS_6detail16IndexBoundsCheckILm4ElEESD_Lm4ESE_lEENS7_INS8_ISB_SC_Lm3ESE_lEESI_SC_Lm4ESE_lEE,comdat
.Lfunc_end1:
	.size	_ZN2at6native12_GLOBAL__N_128upsample_bicubic2d_out_frameIddEEviT0_S3_bN5torch10headeronly6detail27GenericPackedTensorAccessorINS6_14TensorAccessorIN3c108ArrayRefIlEEKT_Lm3ENS5_16DefaultPtrTraitsElEENS_6detail16IndexBoundsCheckILm4ElEESD_Lm4ESE_lEENS7_INS8_ISB_SC_Lm3ESE_lEESI_SC_Lm4ESE_lEE, .Lfunc_end1-_ZN2at6native12_GLOBAL__N_128upsample_bicubic2d_out_frameIddEEviT0_S3_bN5torch10headeronly6detail27GenericPackedTensorAccessorINS6_14TensorAccessorIN3c108ArrayRefIlEEKT_Lm3ENS5_16DefaultPtrTraitsElEENS_6detail16IndexBoundsCheckILm4ElEESD_Lm4ESE_lEENS7_INS8_ISB_SC_Lm3ESE_lEESI_SC_Lm4ESE_lEE
                                        ; -- End function
	.section	.AMDGPU.csdata,"",@progbits
; Kernel info:
; codeLenInByte = 2456
; NumSgprs: 50
; NumVgprs: 80
; NumAgprs: 0
; TotalNumVgprs: 80
; ScratchSize: 0
; MemoryBound: 0
; FloatMode: 240
; IeeeMode: 1
; LDSByteSize: 0 bytes/workgroup (compile time only)
; SGPRBlocks: 6
; VGPRBlocks: 9
; NumSGPRsForWavesPerEU: 50
; NumVGPRsForWavesPerEU: 80
; AccumOffset: 80
; Occupancy: 6
; WaveLimiterHint : 1
; COMPUTE_PGM_RSRC2:SCRATCH_EN: 0
; COMPUTE_PGM_RSRC2:USER_SGPR: 6
; COMPUTE_PGM_RSRC2:TRAP_HANDLER: 0
; COMPUTE_PGM_RSRC2:TGID_X_EN: 1
; COMPUTE_PGM_RSRC2:TGID_Y_EN: 0
; COMPUTE_PGM_RSRC2:TGID_Z_EN: 0
; COMPUTE_PGM_RSRC2:TIDIG_COMP_CNT: 0
; COMPUTE_PGM_RSRC3_GFX90A:ACCUM_OFFSET: 19
; COMPUTE_PGM_RSRC3_GFX90A:TG_SPLIT: 0
	.section	.text._ZN2at6native12_GLOBAL__N_137upsample_bicubic2d_out_frame_parallelIffEEviT0_S3_bN5torch10headeronly6detail27GenericPackedTensorAccessorINS6_14TensorAccessorIN3c108ArrayRefIlEEKT_Lm3ENS5_16DefaultPtrTraitsElEENS_6detail16IndexBoundsCheckILm4ElEESD_Lm4ESE_lEENS7_INS8_ISB_SC_Lm3ESE_lEESI_SC_Lm4ESE_lEE,"axG",@progbits,_ZN2at6native12_GLOBAL__N_137upsample_bicubic2d_out_frame_parallelIffEEviT0_S3_bN5torch10headeronly6detail27GenericPackedTensorAccessorINS6_14TensorAccessorIN3c108ArrayRefIlEEKT_Lm3ENS5_16DefaultPtrTraitsElEENS_6detail16IndexBoundsCheckILm4ElEESD_Lm4ESE_lEENS7_INS8_ISB_SC_Lm3ESE_lEESI_SC_Lm4ESE_lEE,comdat
	.globl	_ZN2at6native12_GLOBAL__N_137upsample_bicubic2d_out_frame_parallelIffEEviT0_S3_bN5torch10headeronly6detail27GenericPackedTensorAccessorINS6_14TensorAccessorIN3c108ArrayRefIlEEKT_Lm3ENS5_16DefaultPtrTraitsElEENS_6detail16IndexBoundsCheckILm4ElEESD_Lm4ESE_lEENS7_INS8_ISB_SC_Lm3ESE_lEESI_SC_Lm4ESE_lEE ; -- Begin function _ZN2at6native12_GLOBAL__N_137upsample_bicubic2d_out_frame_parallelIffEEviT0_S3_bN5torch10headeronly6detail27GenericPackedTensorAccessorINS6_14TensorAccessorIN3c108ArrayRefIlEEKT_Lm3ENS5_16DefaultPtrTraitsElEENS_6detail16IndexBoundsCheckILm4ElEESD_Lm4ESE_lEENS7_INS8_ISB_SC_Lm3ESE_lEESI_SC_Lm4ESE_lEE
	.p2align	8
	.type	_ZN2at6native12_GLOBAL__N_137upsample_bicubic2d_out_frame_parallelIffEEviT0_S3_bN5torch10headeronly6detail27GenericPackedTensorAccessorINS6_14TensorAccessorIN3c108ArrayRefIlEEKT_Lm3ENS5_16DefaultPtrTraitsElEENS_6detail16IndexBoundsCheckILm4ElEESD_Lm4ESE_lEENS7_INS8_ISB_SC_Lm3ESE_lEESI_SC_Lm4ESE_lEE,@function
_ZN2at6native12_GLOBAL__N_137upsample_bicubic2d_out_frame_parallelIffEEviT0_S3_bN5torch10headeronly6detail27GenericPackedTensorAccessorINS6_14TensorAccessorIN3c108ArrayRefIlEEKT_Lm3ENS5_16DefaultPtrTraitsElEENS_6detail16IndexBoundsCheckILm4ElEESD_Lm4ESE_lEENS7_INS8_ISB_SC_Lm3ESE_lEESI_SC_Lm4ESE_lEE: ; @_ZN2at6native12_GLOBAL__N_137upsample_bicubic2d_out_frame_parallelIffEEviT0_S3_bN5torch10headeronly6detail27GenericPackedTensorAccessorINS6_14TensorAccessorIN3c108ArrayRefIlEEKT_Lm3ENS5_16DefaultPtrTraitsElEENS_6detail16IndexBoundsCheckILm4ElEESD_Lm4ESE_lEENS7_INS8_ISB_SC_Lm3ESE_lEESI_SC_Lm4ESE_lEE
; %bb.0:
	s_load_dword s0, s[4:5], 0xac
	s_load_dwordx4 s[8:11], s[4:5], 0x0
	s_add_u32 s30, s4, 0xa0
	s_addc_u32 s31, s5, 0
	s_waitcnt lgkmcnt(0)
	s_and_b32 s0, s0, 0xffff
	s_mul_i32 s6, s6, s0
	v_add_u32_e32 v0, s6, v0
	v_cmp_gt_i32_e32 vcc, s8, v0
	s_and_saveexec_b64 s[0:1], vcc
	s_cbranch_execz .LBB2_10
; %bb.1:
	s_load_dwordx4 s[0:3], s[4:5], 0x70
	v_sub_u32_e32 v2, 0, v0
	v_max_i32_e32 v2, v0, v2
	s_load_dword s6, s[4:5], 0x18
	s_load_dwordx4 s[52:55], s[4:5], 0x20
	s_load_dword s8, s[4:5], 0x30
	s_waitcnt lgkmcnt(0)
	s_abs_i32 s1, s2
	v_cvt_f32_u32_e32 v1, s1
	s_sub_i32 s3, 0, s1
	v_xor_b32_e32 v3, s2, v0
	v_ashrrev_i32_e32 v3, 31, v3
	v_rcp_iflag_f32_e32 v1, v1
	s_cmp_lg_u32 s54, s0
	s_mul_i32 s6, s52, s6
	v_mul_f32_e32 v1, 0x4f7ffffe, v1
	v_cvt_u32_f32_e32 v1, v1
	v_mul_lo_u32 v4, s3, v1
	v_mul_hi_u32 v4, v1, v4
	v_add_u32_e32 v1, v1, v4
	v_mul_hi_u32 v1, v2, v1
	v_mul_lo_u32 v4, v1, s1
	v_sub_u32_e32 v2, v2, v4
	v_add_u32_e32 v5, 1, v1
	v_cmp_le_u32_e32 vcc, s1, v2
	v_subrev_u32_e32 v4, s1, v2
	v_cndmask_b32_e32 v1, v1, v5, vcc
	v_cndmask_b32_e32 v2, v2, v4, vcc
	v_add_u32_e32 v4, 1, v1
	v_cmp_le_u32_e32 vcc, s1, v2
	v_cndmask_b32_e32 v1, v1, v4, vcc
	v_xor_b32_e32 v1, v1, v3
	v_sub_u32_e32 v21, v1, v3
	s_cselect_b64 s[0:1], -1, 0
	s_cmp_lg_u32 s8, s2
	v_mul_lo_u32 v1, v21, s2
	s_cselect_b64 s[2:3], -1, 0
	s_or_b64 s[0:1], s[2:3], s[0:1]
	s_cmp_lt_i32 s7, s6
	s_cselect_b64 s[12:13], -1, 0
	v_sub_u32_e32 v20, v0, v1
	v_cndmask_b32_e64 v0, 0, 1, s[12:13]
	s_mov_b64 s[2:3], -1
	s_and_b64 vcc, exec, s[0:1]
	v_cmp_ne_u32_e64 s[0:1], 1, v0
	s_cbranch_vccz .LBB2_6
; %bb.2:
	s_and_b64 vcc, exec, s[0:1]
	s_cbranch_vccnz .LBB2_5
; %bb.3:
	v_cvt_f32_i32_e32 v0, v21
	s_bitcmp1_b32 s11, 0
	v_cvt_f32_i32_e32 v1, v20
	s_cselect_b64 vcc, -1, 0
	v_mul_f32_e32 v2, s9, v0
	v_add_f32_e32 v0, 0.5, v0
	v_fma_f32 v0, v0, s9, -0.5
	v_cndmask_b32_e32 v0, v0, v2, vcc
	v_floor_f32_e32 v2, v0
	v_cvt_i32_f32_e32 v30, v2
	v_mul_f32_e32 v2, s10, v1
	v_add_f32_e32 v1, 0.5, v1
	v_fma_f32 v1, v1, s10, -0.5
	v_cndmask_b32_e32 v1, v1, v2, vcc
	v_floor_f32_e32 v2, v1
	v_cvt_i32_f32_e32 v8, v2
	v_cvt_f32_i32_e32 v2, v30
	s_load_dwordx8 s[36:43], s[4:5], 0x38
	s_add_i32 s8, s8, -1
	v_cvt_f32_i32_e32 v3, v8
	v_sub_f32_e32 v10, v0, v2
	v_add_u32_e32 v0, -1, v8
	v_min_i32_e32 v0, s8, v0
	v_sub_f32_e32 v11, v1, v3
	v_max_i32_e32 v1, 0, v0
	s_waitcnt lgkmcnt(0)
	v_mad_u64_u32 v[2:3], s[2:3], s42, v1, 0
	v_mov_b32_e32 v0, v3
	v_mad_u64_u32 v[0:1], s[2:3], s43, v1, v[0:1]
	v_mov_b32_e32 v3, v0
	v_min_i32_e32 v0, s8, v8
	v_max_i32_e32 v1, 0, v0
	v_mad_u64_u32 v[4:5], s[2:3], s42, v1, 0
	v_mov_b32_e32 v0, v5
	v_mad_u64_u32 v[0:1], s[2:3], s43, v1, v[0:1]
	v_mov_b32_e32 v5, v0
	v_add_u32_e32 v0, 1, v8
	v_min_i32_e32 v0, s8, v0
	v_max_i32_e32 v1, 0, v0
	v_mad_u64_u32 v[6:7], s[2:3], s42, v1, 0
	v_mov_b32_e32 v0, v7
	v_mad_u64_u32 v[0:1], s[2:3], s43, v1, v[0:1]
	v_mov_b32_e32 v7, v0
	v_add_u32_e32 v0, 2, v8
	v_min_i32_e32 v0, s8, v0
	v_max_i32_e32 v1, 0, v0
	v_mad_u64_u32 v[8:9], s[2:3], s42, v1, 0
	v_mov_b32_e32 v0, v9
	v_mad_u64_u32 v[0:1], s[2:3], s43, v1, v[0:1]
	v_mov_b32_e32 v9, v0
	v_add_f32_e32 v0, 1.0, v11
	v_mov_b32_e32 v13, 0x40700000
	v_fmac_f32_e32 v13, 0xbf400000, v0
	v_mov_b32_e32 v14, 0xc0c00000
	v_fma_f32 v13, v0, v13, v14
	v_mov_b32_e32 v22, 0x40400000
	v_fma_f32 v23, v0, v13, v22
	v_mov_b32_e32 v13, 0xc0100000
	v_fmac_f32_e32 v13, 0x3fa00000, v11
	v_mul_f32_e32 v13, v11, v13
	v_fma_f32 v24, v11, v13, 1.0
	v_sub_f32_e32 v11, 1.0, v11
	v_mov_b32_e32 v13, 0xc0100000
	v_fmac_f32_e32 v13, 0x3fa00000, v11
	v_mul_f32_e32 v13, v11, v13
	v_fma_f32 v25, v11, v13, 1.0
	v_add_f32_e32 v11, 1.0, v11
	v_mov_b32_e32 v13, 0x40700000
	v_fmac_f32_e32 v13, 0xbf400000, v11
	v_fma_f32 v13, v11, v13, v14
	v_fma_f32 v26, v11, v13, v22
	v_add_f32_e32 v11, 1.0, v10
	v_mov_b32_e32 v13, 0x40700000
	v_fmac_f32_e32 v13, 0xbf400000, v11
	v_fma_f32 v13, v11, v13, v14
	v_fma_f32 v27, v11, v13, v22
	v_mov_b32_e32 v11, 0xc0100000
	v_fmac_f32_e32 v11, 0x3fa00000, v10
	v_mul_f32_e32 v11, v10, v11
	v_mov_b32_e32 v0, 0xc0100000
	v_fma_f32 v28, v10, v11, 1.0
	v_sub_f32_e32 v10, 1.0, v10
	v_fmac_f32_e32 v0, 0x3fa00000, v10
	v_mul_f32_e32 v0, v10, v0
	s_load_dwordx8 s[44:51], s[4:5], 0x80
	v_mov_b32_e32 v1, 0x40700000
	v_fma_f32 v29, v10, v0, 1.0
	v_add_f32_e32 v0, 1.0, v10
	v_fmac_f32_e32 v1, 0xbf400000, v0
	v_fmac_f32_e32 v14, v0, v1
	;; [unrolled: 1-line block ×3, first 2 shown]
	v_ashrrev_i32_e32 v0, 31, v21
	s_waitcnt lgkmcnt(0)
	v_mul_lo_u32 v1, s49, v21
	v_mul_lo_u32 v0, s48, v0
	v_mad_u64_u32 v[16:17], s[2:3], s48, v21, 0
	v_add3_u32 v17, v17, v0, v1
	v_ashrrev_i32_e32 v0, 31, v20
	v_add_u32_e32 v12, -1, v30
	s_add_i32 s9, s54, -1
	v_mul_lo_u32 v1, s51, v20
	v_mul_lo_u32 v0, s50, v0
	v_mad_u64_u32 v[18:19], s[2:3], s50, v20, 0
	v_add3_u32 v19, v19, v0, v1
	v_min_i32_e32 v0, s9, v12
	v_max_i32_e32 v11, 0, v0
	v_mad_u64_u32 v[0:1], s[2:3], s40, v11, 0
	v_mov_b32_e32 v10, v1
	v_mad_u64_u32 v[10:11], s[2:3], s41, v11, v[10:11]
	v_mov_b32_e32 v1, v10
	v_min_i32_e32 v10, s9, v30
	v_max_i32_e32 v13, 0, v10
	v_mad_u64_u32 v[10:11], s[2:3], s40, v13, 0
	v_mov_b32_e32 v12, v11
	v_mad_u64_u32 v[12:13], s[2:3], s41, v13, v[12:13]
	v_mov_b32_e32 v11, v12
	v_add_u32_e32 v12, 1, v30
	v_min_i32_e32 v12, s9, v12
	v_max_i32_e32 v15, 0, v12
	v_mad_u64_u32 v[12:13], s[2:3], s40, v15, 0
	v_mov_b32_e32 v14, v13
	v_mad_u64_u32 v[14:15], s[2:3], s41, v15, v[14:15]
	s_abs_i32 s42, s52
	v_mov_b32_e32 v13, v14
	v_add_u32_e32 v14, 2, v30
	v_cvt_f32_u32_e32 v30, s42
	v_min_i32_e32 v14, s9, v14
	v_max_i32_e32 v31, 0, v14
	v_mad_u64_u32 v[14:15], s[2:3], s40, v31, 0
	v_rcp_iflag_f32_e32 v32, v30
	v_mov_b32_e32 v30, v15
	v_mad_u64_u32 v[30:31], s[2:3], s41, v31, v[30:31]
	v_mul_f32_e32 v15, 0x4f7ffffe, v32
	v_cvt_u32_f32_e32 v31, v15
	s_load_dwordx2 s[34:35], s[4:5], 0x10
	s_load_dwordx2 s[54:55], s[4:5], 0x58
	s_load_dword s33, s[30:31], 0x8
	s_sub_i32 s2, 0, s42
	v_readfirstlane_b32 s3, v31
	s_mul_i32 s2, s2, s3
	v_mov_b32_e32 v15, v30
	s_mul_hi_u32 s2, s3, s2
	s_ashr_i32 s40, s52, 31
	s_add_i32 s41, s3, s2
	s_sub_i32 s43, 0, s52
	v_lshlrev_b64 v[0:1], 2, v[0:1]
	v_lshlrev_b64 v[2:3], 2, v[2:3]
	;; [unrolled: 1-line block ×10, first 2 shown]
	s_mov_b32 s48, s7
.LBB2_4:                                ; =>This Inner Loop Header: Depth=1
	s_abs_i32 s3, s48
	s_mul_hi_u32 s8, s3, s41
	s_mul_i32 s9, s8, s42
	s_ashr_i32 s2, s48, 31
	s_sub_i32 s3, s3, s9
	s_xor_b32 s2, s2, s40
	s_add_i32 s10, s8, 1
	s_sub_i32 s9, s3, s42
	s_cmp_ge_u32 s3, s42
	s_cselect_b32 s8, s10, s8
	s_cselect_b32 s3, s9, s3
	s_add_i32 s9, s8, 1
	s_cmp_ge_u32 s3, s42
	s_cselect_b32 s3, s9, s8
	s_xor_b32 s3, s3, s2
	s_sub_i32 s50, s3, s2
	s_mul_i32 s3, s43, s50
	s_ashr_i32 s51, s50, 31
	s_mul_hi_u32 s8, s36, s50
	s_add_i32 s49, s48, s3
	s_mul_i32 s3, s36, s51
	s_mul_i32 s9, s37, s50
	s_add_i32 s3, s8, s3
	s_mul_i32 s2, s36, s50
	s_add_i32 s3, s3, s9
	s_lshl_b64 s[2:3], s[2:3], 2
	s_waitcnt lgkmcnt(0)
	s_add_u32 s12, s34, s2
	s_addc_u32 s13, s35, s3
	s_ashr_i32 s53, s49, 31
	s_mul_hi_u32 s10, s38, s49
	s_mul_i32 s2, s38, s53
	s_mul_i32 s11, s39, s49
	s_add_i32 s2, s10, s2
	s_mul_i32 s8, s38, s49
	s_add_i32 s9, s2, s11
	s_lshl_b64 s[2:3], s[8:9], 2
	s_add_u32 s10, s12, s2
	s_addc_u32 s8, s13, s3
	v_mov_b32_e32 v30, s8
	v_mov_b32_e32 v31, s8
	v_add_co_u32_e32 v37, vcc, s10, v10
	v_mov_b32_e32 v33, s8
	v_add_co_u32_e64 v35, s[2:3], s10, v12
	v_mov_b32_e32 v39, s8
	v_add_co_u32_e64 v60, s[8:9], s10, v14
	v_add_co_u32_e64 v41, s[10:11], s10, v0
	v_addc_co_u32_e64 v43, s[10:11], v30, v1, s[10:11]
	v_add_co_u32_e64 v30, s[10:11], v41, v4
	v_add_co_u32_e64 v32, s[12:13], v41, v6
	;; [unrolled: 1-line block ×3, first 2 shown]
	v_addc_co_u32_e64 v49, s[2:3], v33, v13, s[2:3]
	v_addc_co_u32_e32 v45, vcc, v31, v11, vcc
	v_add_co_u32_e64 v42, s[2:3], v35, v2
	v_add_co_u32_e64 v44, s[20:21], v35, v4
	;; [unrolled: 1-line block ×4, first 2 shown]
	v_addc_co_u32_e64 v31, s[10:11], v43, v5, s[10:11]
	v_addc_co_u32_e64 v33, s[10:11], v43, v7, s[12:13]
	v_addc_co_u32_e64 v35, s[10:11], v43, v9, s[14:15]
	v_add_co_u32_e32 v36, vcc, v37, v4
	v_add_co_u32_e64 v38, s[16:17], v37, v6
	v_add_co_u32_e64 v40, s[18:19], v37, v8
	;; [unrolled: 1-line block ×4, first 2 shown]
	v_addc_co_u32_e64 v61, s[8:9], v39, v15, s[8:9]
	v_addc_co_u32_e64 v55, s[28:29], v43, v3, s[28:29]
	;; [unrolled: 1-line block ×3, first 2 shown]
	v_addc_co_u32_e32 v37, vcc, v45, v5, vcc
	v_addc_co_u32_e64 v39, vcc, v45, v7, s[16:17]
	v_addc_co_u32_e64 v41, vcc, v45, v9, s[18:19]
	;; [unrolled: 1-line block ×6, first 2 shown]
	v_add_co_u32_e64 v50, s[8:9], v60, v4
	v_add_co_u32_e64 v52, s[26:27], v60, v6
	v_add_co_u32_e32 v58, vcc, v60, v2
	v_addc_co_u32_e32 v59, vcc, v61, v3, vcc
	v_addc_co_u32_e64 v51, vcc, v61, v5, s[8:9]
	v_addc_co_u32_e64 v53, vcc, v61, v7, s[26:27]
	v_add_co_u32_e32 v60, vcc, v60, v8
	v_addc_co_u32_e32 v61, vcc, v61, v9, vcc
	global_load_dword v62, v[30:31], off
	global_load_dword v63, v[36:37], off
                                        ; kill: killed $vgpr36 killed $vgpr37
                                        ; kill: killed $vgpr30 killed $vgpr31
	s_nop 0
	global_load_dword v36, v[44:45], off
	global_load_dword v37, v[50:51], off
	;; [unrolled: 1-line block ×4, first 2 shown]
                                        ; kill: killed $vgpr54 killed $vgpr55
                                        ; kill: killed $vgpr56 killed $vgpr57
                                        ; kill: killed $vgpr50 killed $vgpr51
                                        ; kill: killed $vgpr44 killed $vgpr45
	s_nop 0
	global_load_dword v44, v[42:43], off
	global_load_dword v45, v[58:59], off
	global_load_dword v50, v[32:33], off
	global_load_dword v51, v[38:39], off
	global_load_dword v54, v[46:47], off
	global_load_dword v55, v[52:53], off
	global_load_dword v56, v[34:35], off
	global_load_dword v57, v[40:41], off
                                        ; kill: killed $vgpr58 killed $vgpr59
                                        ; kill: killed $vgpr42 killed $vgpr43
                                        ; kill: killed $vgpr32 killed $vgpr33
                                        ; kill: killed $vgpr52 killed $vgpr53
                                        ; kill: killed $vgpr40 killed $vgpr41
                                        ; kill: killed $vgpr46 killed $vgpr47
                                        ; kill: killed $vgpr34 killed $vgpr35
                                        ; kill: killed $vgpr38 killed $vgpr39
	global_load_dword v32, v[48:49], off
	global_load_dword v33, v[60:61], off
	s_mul_hi_u32 s3, s44, s50
	s_mul_i32 s10, s44, s51
	s_mul_i32 s9, s45, s50
	s_add_i32 s3, s3, s10
	s_mul_i32 s2, s44, s50
	s_add_i32 s3, s3, s9
	s_lshl_b64 s[2:3], s[2:3], 2
	s_mul_hi_u32 s11, s46, s49
	s_mul_i32 s13, s46, s53
	s_add_u32 s10, s54, s2
	s_mul_i32 s12, s47, s49
	s_addc_u32 s14, s55, s3
	s_add_i32 s2, s11, s13
	s_mul_i32 s8, s46, s49
	s_add_i32 s9, s2, s12
	s_lshl_b64 s[2:3], s[8:9], 2
	s_add_u32 s2, s10, s2
	s_addc_u32 s3, s14, s3
	v_mov_b32_e32 v30, s3
	v_add_co_u32_e32 v31, vcc, s2, v16
	v_addc_co_u32_e32 v34, vcc, v30, v17, vcc
	v_add_co_u32_e32 v30, vcc, v31, v18
	v_addc_co_u32_e32 v31, vcc, v34, v19, vcc
	s_add_i32 s48, s48, s33
	s_cmp_lt_i32 s48, s6
	s_waitcnt vmcnt(15)
	v_mul_f32_e32 v34, v24, v62
	s_waitcnt vmcnt(14)
	v_mul_f32_e32 v35, v24, v63
	;; [unrolled: 2-line block ×4, first 2 shown]
	s_waitcnt vmcnt(11)
	v_fmac_f32_e32 v34, v23, v64
	s_waitcnt vmcnt(10)
	v_fmac_f32_e32 v35, v23, v65
	;; [unrolled: 2-line block ×11, first 2 shown]
	v_mul_f32_e32 v32, v27, v34
	v_fmac_f32_e32 v32, v28, v35
	s_waitcnt vmcnt(0)
	v_fmac_f32_e32 v37, v26, v33
	v_fmac_f32_e32 v32, v29, v36
	;; [unrolled: 1-line block ×3, first 2 shown]
	global_store_dword v[30:31], v32, off
	s_cbranch_scc1 .LBB2_4
.LBB2_5:
	s_mov_b64 s[2:3], 0
.LBB2_6:
	s_andn2_b64 vcc, exec, s[2:3]
	s_cbranch_vccnz .LBB2_10
; %bb.7:
	s_and_b64 vcc, exec, s[0:1]
	s_cbranch_vccnz .LBB2_10
; %bb.8:
	s_load_dwordx8 s[8:15], s[4:5], 0x38
	s_load_dwordx2 s[0:1], s[4:5], 0x10
	s_load_dwordx2 s[2:3], s[4:5], 0x58
	s_load_dwordx8 s[16:23], s[4:5], 0x80
	v_ashrrev_i32_e32 v4, 31, v21
	s_waitcnt lgkmcnt(0)
	v_mul_lo_u32 v2, s13, v21
	v_mul_lo_u32 v3, s12, v4
	v_mad_u64_u32 v[0:1], s[12:13], s12, v21, 0
	v_ashrrev_i32_e32 v6, 31, v20
	v_add3_u32 v1, v1, v3, v2
	v_mul_lo_u32 v5, s15, v20
	v_mul_lo_u32 v7, s14, v6
	v_mad_u64_u32 v[2:3], s[4:5], s14, v20, 0
	v_add3_u32 v3, v3, v7, v5
	v_mul_lo_u32 v8, s20, v4
	v_mad_u64_u32 v[4:5], s[4:5], s20, v21, 0
	s_abs_i32 s4, s52
	v_cvt_f32_u32_e32 v9, s4
	v_mul_lo_u32 v7, s21, v21
	v_add3_u32 v5, v5, v8, v7
	v_mul_lo_u32 v8, s23, v20
	v_rcp_iflag_f32_e32 v9, v9
	v_mul_lo_u32 v10, s22, v6
	v_mad_u64_u32 v[6:7], s[12:13], s22, v20, 0
	v_add3_u32 v7, v7, v10, v8
	v_mul_f32_e32 v8, 0x4f7ffffe, v9
	v_cvt_u32_f32_e32 v8, v8
	s_load_dword s5, s[30:31], 0x8
	s_sub_i32 s13, 0, s4
	s_ashr_i32 s12, s52, 31
	v_readfirstlane_b32 s14, v8
	s_mul_i32 s13, s13, s14
	s_mul_hi_u32 s13, s14, s13
	s_add_i32 s13, s14, s13
	s_sub_i32 s14, 0, s52
	v_lshlrev_b64 v[0:1], 2, v[0:1]
	v_lshlrev_b64 v[2:3], 2, v[2:3]
	;; [unrolled: 1-line block ×4, first 2 shown]
.LBB2_9:                                ; =>This Inner Loop Header: Depth=1
	s_abs_i32 s20, s7
	s_mul_hi_u32 s21, s20, s13
	s_mul_i32 s22, s21, s4
	s_ashr_i32 s15, s7, 31
	s_sub_i32 s20, s20, s22
	s_xor_b32 s15, s15, s12
	s_add_i32 s23, s21, 1
	s_sub_i32 s22, s20, s4
	s_cmp_ge_u32 s20, s4
	s_cselect_b32 s21, s23, s21
	s_cselect_b32 s20, s22, s20
	s_add_i32 s22, s21, 1
	s_cmp_ge_u32 s20, s4
	s_cselect_b32 s20, s22, s21
	s_xor_b32 s20, s20, s15
	s_sub_i32 s15, s20, s15
	s_mul_i32 s21, s14, s15
	s_ashr_i32 s24, s15, 31
	s_mul_hi_u32 s22, s8, s15
	s_add_i32 s25, s7, s21
	s_mul_i32 s21, s8, s24
	s_mul_i32 s23, s9, s15
	s_add_i32 s21, s22, s21
	s_mul_i32 s20, s8, s15
	s_add_i32 s21, s21, s23
	s_lshl_b64 s[20:21], s[20:21], 2
	s_add_u32 s28, s0, s20
	s_addc_u32 s29, s1, s21
	s_ashr_i32 s30, s25, 31
	s_mul_hi_u32 s26, s10, s25
	s_mul_i32 s20, s10, s30
	s_mul_i32 s27, s11, s25
	s_add_i32 s20, s26, s20
	s_mul_i32 s22, s10, s25
	s_add_i32 s23, s20, s27
	s_lshl_b64 s[20:21], s[22:23], 2
	s_add_u32 s20, s28, s20
	s_addc_u32 s21, s29, s21
	v_mov_b32_e32 v8, s21
	v_add_co_u32_e32 v9, vcc, s20, v0
	v_addc_co_u32_e32 v10, vcc, v8, v1, vcc
	v_add_co_u32_e32 v8, vcc, v9, v2
	v_addc_co_u32_e32 v9, vcc, v10, v3, vcc
	global_load_dword v10, v[8:9], off
	s_mul_hi_u32 s21, s16, s15
	s_mul_i32 s23, s17, s15
	s_mul_i32 s20, s16, s15
	;; [unrolled: 1-line block ×3, first 2 shown]
	s_add_i32 s15, s21, s15
	s_add_i32 s21, s15, s23
	s_lshl_b64 s[20:21], s[20:21], 2
	s_mul_hi_u32 s24, s18, s25
	s_mul_i32 s26, s19, s25
	s_mul_i32 s22, s18, s25
	;; [unrolled: 1-line block ×3, first 2 shown]
	s_add_u32 s15, s2, s20
	s_addc_u32 s27, s3, s21
	s_add_i32 s20, s24, s25
	s_add_i32 s23, s20, s26
	s_lshl_b64 s[20:21], s[22:23], 2
	s_add_u32 s15, s15, s20
	s_addc_u32 s20, s27, s21
	v_mov_b32_e32 v8, s20
	v_add_co_u32_e32 v9, vcc, s15, v4
	v_addc_co_u32_e32 v11, vcc, v8, v5, vcc
	s_waitcnt lgkmcnt(0)
	s_add_i32 s7, s7, s5
	v_add_co_u32_e32 v8, vcc, v9, v6
	s_cmp_ge_i32 s7, s6
	v_addc_co_u32_e32 v9, vcc, v11, v7, vcc
	s_waitcnt vmcnt(0)
	global_store_dword v[8:9], v10, off
	s_cbranch_scc0 .LBB2_9
.LBB2_10:
	s_endpgm
	.section	.rodata,"a",@progbits
	.p2align	6, 0x0
	.amdhsa_kernel _ZN2at6native12_GLOBAL__N_137upsample_bicubic2d_out_frame_parallelIffEEviT0_S3_bN5torch10headeronly6detail27GenericPackedTensorAccessorINS6_14TensorAccessorIN3c108ArrayRefIlEEKT_Lm3ENS5_16DefaultPtrTraitsElEENS_6detail16IndexBoundsCheckILm4ElEESD_Lm4ESE_lEENS7_INS8_ISB_SC_Lm3ESE_lEESI_SC_Lm4ESE_lEE
		.amdhsa_group_segment_fixed_size 0
		.amdhsa_private_segment_fixed_size 0
		.amdhsa_kernarg_size 416
		.amdhsa_user_sgpr_count 6
		.amdhsa_user_sgpr_private_segment_buffer 1
		.amdhsa_user_sgpr_dispatch_ptr 0
		.amdhsa_user_sgpr_queue_ptr 0
		.amdhsa_user_sgpr_kernarg_segment_ptr 1
		.amdhsa_user_sgpr_dispatch_id 0
		.amdhsa_user_sgpr_flat_scratch_init 0
		.amdhsa_user_sgpr_kernarg_preload_length 0
		.amdhsa_user_sgpr_kernarg_preload_offset 0
		.amdhsa_user_sgpr_private_segment_size 0
		.amdhsa_uses_dynamic_stack 0
		.amdhsa_system_sgpr_private_segment_wavefront_offset 0
		.amdhsa_system_sgpr_workgroup_id_x 1
		.amdhsa_system_sgpr_workgroup_id_y 0
		.amdhsa_system_sgpr_workgroup_id_z 1
		.amdhsa_system_sgpr_workgroup_info 0
		.amdhsa_system_vgpr_workitem_id 0
		.amdhsa_next_free_vgpr 66
		.amdhsa_next_free_sgpr 56
		.amdhsa_accum_offset 68
		.amdhsa_reserve_vcc 1
		.amdhsa_reserve_flat_scratch 0
		.amdhsa_float_round_mode_32 0
		.amdhsa_float_round_mode_16_64 0
		.amdhsa_float_denorm_mode_32 3
		.amdhsa_float_denorm_mode_16_64 3
		.amdhsa_dx10_clamp 1
		.amdhsa_ieee_mode 1
		.amdhsa_fp16_overflow 0
		.amdhsa_tg_split 0
		.amdhsa_exception_fp_ieee_invalid_op 0
		.amdhsa_exception_fp_denorm_src 0
		.amdhsa_exception_fp_ieee_div_zero 0
		.amdhsa_exception_fp_ieee_overflow 0
		.amdhsa_exception_fp_ieee_underflow 0
		.amdhsa_exception_fp_ieee_inexact 0
		.amdhsa_exception_int_div_zero 0
	.end_amdhsa_kernel
	.section	.text._ZN2at6native12_GLOBAL__N_137upsample_bicubic2d_out_frame_parallelIffEEviT0_S3_bN5torch10headeronly6detail27GenericPackedTensorAccessorINS6_14TensorAccessorIN3c108ArrayRefIlEEKT_Lm3ENS5_16DefaultPtrTraitsElEENS_6detail16IndexBoundsCheckILm4ElEESD_Lm4ESE_lEENS7_INS8_ISB_SC_Lm3ESE_lEESI_SC_Lm4ESE_lEE,"axG",@progbits,_ZN2at6native12_GLOBAL__N_137upsample_bicubic2d_out_frame_parallelIffEEviT0_S3_bN5torch10headeronly6detail27GenericPackedTensorAccessorINS6_14TensorAccessorIN3c108ArrayRefIlEEKT_Lm3ENS5_16DefaultPtrTraitsElEENS_6detail16IndexBoundsCheckILm4ElEESD_Lm4ESE_lEENS7_INS8_ISB_SC_Lm3ESE_lEESI_SC_Lm4ESE_lEE,comdat
.Lfunc_end2:
	.size	_ZN2at6native12_GLOBAL__N_137upsample_bicubic2d_out_frame_parallelIffEEviT0_S3_bN5torch10headeronly6detail27GenericPackedTensorAccessorINS6_14TensorAccessorIN3c108ArrayRefIlEEKT_Lm3ENS5_16DefaultPtrTraitsElEENS_6detail16IndexBoundsCheckILm4ElEESD_Lm4ESE_lEENS7_INS8_ISB_SC_Lm3ESE_lEESI_SC_Lm4ESE_lEE, .Lfunc_end2-_ZN2at6native12_GLOBAL__N_137upsample_bicubic2d_out_frame_parallelIffEEviT0_S3_bN5torch10headeronly6detail27GenericPackedTensorAccessorINS6_14TensorAccessorIN3c108ArrayRefIlEEKT_Lm3ENS5_16DefaultPtrTraitsElEENS_6detail16IndexBoundsCheckILm4ElEESD_Lm4ESE_lEENS7_INS8_ISB_SC_Lm3ESE_lEESI_SC_Lm4ESE_lEE
                                        ; -- End function
	.section	.AMDGPU.csdata,"",@progbits
; Kernel info:
; codeLenInByte = 2644
; NumSgprs: 60
; NumVgprs: 66
; NumAgprs: 0
; TotalNumVgprs: 66
; ScratchSize: 0
; MemoryBound: 0
; FloatMode: 240
; IeeeMode: 1
; LDSByteSize: 0 bytes/workgroup (compile time only)
; SGPRBlocks: 7
; VGPRBlocks: 8
; NumSGPRsForWavesPerEU: 60
; NumVGPRsForWavesPerEU: 66
; AccumOffset: 68
; Occupancy: 7
; WaveLimiterHint : 1
; COMPUTE_PGM_RSRC2:SCRATCH_EN: 0
; COMPUTE_PGM_RSRC2:USER_SGPR: 6
; COMPUTE_PGM_RSRC2:TRAP_HANDLER: 0
; COMPUTE_PGM_RSRC2:TGID_X_EN: 1
; COMPUTE_PGM_RSRC2:TGID_Y_EN: 0
; COMPUTE_PGM_RSRC2:TGID_Z_EN: 1
; COMPUTE_PGM_RSRC2:TIDIG_COMP_CNT: 0
; COMPUTE_PGM_RSRC3_GFX90A:ACCUM_OFFSET: 16
; COMPUTE_PGM_RSRC3_GFX90A:TG_SPLIT: 0
	.section	.text._ZN2at6native12_GLOBAL__N_128upsample_bicubic2d_out_frameIffEEviT0_S3_bN5torch10headeronly6detail27GenericPackedTensorAccessorINS6_14TensorAccessorIN3c108ArrayRefIlEEKT_Lm3ENS5_16DefaultPtrTraitsElEENS_6detail16IndexBoundsCheckILm4ElEESD_Lm4ESE_lEENS7_INS8_ISB_SC_Lm3ESE_lEESI_SC_Lm4ESE_lEE,"axG",@progbits,_ZN2at6native12_GLOBAL__N_128upsample_bicubic2d_out_frameIffEEviT0_S3_bN5torch10headeronly6detail27GenericPackedTensorAccessorINS6_14TensorAccessorIN3c108ArrayRefIlEEKT_Lm3ENS5_16DefaultPtrTraitsElEENS_6detail16IndexBoundsCheckILm4ElEESD_Lm4ESE_lEENS7_INS8_ISB_SC_Lm3ESE_lEESI_SC_Lm4ESE_lEE,comdat
	.globl	_ZN2at6native12_GLOBAL__N_128upsample_bicubic2d_out_frameIffEEviT0_S3_bN5torch10headeronly6detail27GenericPackedTensorAccessorINS6_14TensorAccessorIN3c108ArrayRefIlEEKT_Lm3ENS5_16DefaultPtrTraitsElEENS_6detail16IndexBoundsCheckILm4ElEESD_Lm4ESE_lEENS7_INS8_ISB_SC_Lm3ESE_lEESI_SC_Lm4ESE_lEE ; -- Begin function _ZN2at6native12_GLOBAL__N_128upsample_bicubic2d_out_frameIffEEviT0_S3_bN5torch10headeronly6detail27GenericPackedTensorAccessorINS6_14TensorAccessorIN3c108ArrayRefIlEEKT_Lm3ENS5_16DefaultPtrTraitsElEENS_6detail16IndexBoundsCheckILm4ElEESD_Lm4ESE_lEENS7_INS8_ISB_SC_Lm3ESE_lEESI_SC_Lm4ESE_lEE
	.p2align	8
	.type	_ZN2at6native12_GLOBAL__N_128upsample_bicubic2d_out_frameIffEEviT0_S3_bN5torch10headeronly6detail27GenericPackedTensorAccessorINS6_14TensorAccessorIN3c108ArrayRefIlEEKT_Lm3ENS5_16DefaultPtrTraitsElEENS_6detail16IndexBoundsCheckILm4ElEESD_Lm4ESE_lEENS7_INS8_ISB_SC_Lm3ESE_lEESI_SC_Lm4ESE_lEE,@function
_ZN2at6native12_GLOBAL__N_128upsample_bicubic2d_out_frameIffEEviT0_S3_bN5torch10headeronly6detail27GenericPackedTensorAccessorINS6_14TensorAccessorIN3c108ArrayRefIlEEKT_Lm3ENS5_16DefaultPtrTraitsElEENS_6detail16IndexBoundsCheckILm4ElEESD_Lm4ESE_lEENS7_INS8_ISB_SC_Lm3ESE_lEESI_SC_Lm4ESE_lEE: ; @_ZN2at6native12_GLOBAL__N_128upsample_bicubic2d_out_frameIffEEviT0_S3_bN5torch10headeronly6detail27GenericPackedTensorAccessorINS6_14TensorAccessorIN3c108ArrayRefIlEEKT_Lm3ENS5_16DefaultPtrTraitsElEENS_6detail16IndexBoundsCheckILm4ElEESD_Lm4ESE_lEENS7_INS8_ISB_SC_Lm3ESE_lEESI_SC_Lm4ESE_lEE
; %bb.0:
	s_load_dword s7, s[4:5], 0xac
	s_load_dwordx4 s[0:3], s[4:5], 0x0
	s_waitcnt lgkmcnt(0)
	s_and_b32 s7, s7, 0xffff
	s_mul_i32 s6, s6, s7
	v_add_u32_e32 v0, s6, v0
	v_cmp_gt_i32_e32 vcc, s0, v0
	s_and_saveexec_b64 s[6:7], vcc
	s_cbranch_execz .LBB3_14
; %bb.1:
	s_load_dwordx4 s[8:11], s[4:5], 0x70
	v_sub_u32_e32 v2, 0, v0
	v_max_i32_e32 v2, v0, v2
	s_load_dwordx8 s[36:43], s[4:5], 0x18
	s_waitcnt lgkmcnt(0)
	s_abs_i32 s0, s10
	v_cvt_f32_u32_e32 v1, s0
	s_sub_i32 s9, 0, s0
	v_xor_b32_e32 v3, s10, v0
	s_cmp_lg_u32 s40, s8
	v_rcp_iflag_f32_e32 v1, v1
	v_ashrrev_i32_e32 v3, 31, v3
	s_cselect_b64 s[6:7], -1, 0
	s_cmp_lg_u32 s42, s10
	v_mul_f32_e32 v1, 0x4f7ffffe, v1
	v_cvt_u32_f32_e32 v1, v1
	v_mul_lo_u32 v4, s9, v1
	v_mul_hi_u32 v4, v1, v4
	v_add_u32_e32 v1, v1, v4
	v_mul_hi_u32 v1, v2, v1
	v_mul_lo_u32 v4, v1, s0
	v_sub_u32_e32 v2, v2, v4
	v_add_u32_e32 v5, 1, v1
	v_cmp_le_u32_e32 vcc, s0, v2
	v_subrev_u32_e32 v4, s0, v2
	v_cndmask_b32_e32 v1, v1, v5, vcc
	v_cndmask_b32_e32 v2, v2, v4, vcc
	v_add_u32_e32 v4, 1, v1
	v_cmp_le_u32_e32 vcc, s0, v2
	v_cndmask_b32_e32 v1, v1, v4, vcc
	v_xor_b32_e32 v1, v1, v3
	s_cselect_b64 s[8:9], -1, 0
	v_sub_u32_e32 v9, v1, v3
	s_or_b64 s[8:9], s[8:9], s[6:7]
	v_mul_lo_u32 v1, v9, s10
	s_cmp_gt_i32 s36, 0
	v_sub_u32_e32 v8, v0, v1
	s_mov_b64 s[6:7], -1
	s_cselect_b64 s[34:35], -1, 0
	s_and_b64 vcc, exec, s[8:9]
	s_cbranch_vccz .LBB3_8
; %bb.2:
	s_andn2_b64 vcc, exec, s[34:35]
	s_cbranch_vccnz .LBB3_7
; %bb.3:
	v_cvt_f32_i32_e32 v1, v8
	s_bitcmp1_b32 s3, 0
	s_cselect_b64 vcc, -1, 0
	s_cmp_gt_i32 s38, 0
	v_mul_f32_e32 v3, s2, v1
	v_add_f32_e32 v1, 0.5, v1
	v_fma_f32 v1, v1, s2, -0.5
	v_cndmask_b32_e32 v1, v1, v3, vcc
	v_floor_f32_e32 v3, v1
	v_cvt_i32_f32_e32 v3, v3
	v_cvt_f32_i32_e32 v0, v9
	s_cselect_b64 s[44:45], -1, 0
	s_add_i32 s2, s42, -1
	v_cvt_f32_i32_e32 v5, v3
	v_mul_f32_e32 v2, s1, v0
	v_add_f32_e32 v0, 0.5, v0
	v_fma_f32 v0, v0, s1, -0.5
	v_sub_f32_e32 v1, v1, v5
	v_add_u32_e32 v5, -1, v3
	v_min_i32_e32 v5, s2, v5
	v_max_i32_e32 v7, 0, v5
	v_min_i32_e32 v5, s2, v3
	v_max_i32_e32 v21, 0, v5
	v_add_u32_e32 v5, 1, v3
	v_add_u32_e32 v3, 2, v3
	v_min_i32_e32 v3, s2, v3
	v_max_i32_e32 v27, 0, v3
	v_add_f32_e32 v3, 1.0, v1
	v_mov_b32_e32 v6, 0x40700000
	v_cndmask_b32_e32 v0, v0, v2, vcc
	v_fmac_f32_e32 v6, 0xbf400000, v3
	v_mov_b32_e32 v18, 0xc0c00000
	v_floor_f32_e32 v2, v0
	v_fma_f32 v6, v3, v6, v18
	v_mov_b32_e32 v10, 0x40400000
	v_cvt_i32_f32_e32 v2, v2
	v_fma_f32 v11, v3, v6, v10
	v_mov_b32_e32 v6, 0xc0100000
	v_fmac_f32_e32 v6, 0x3fa00000, v1
	v_mul_f32_e32 v6, v1, v6
	v_fma_f32 v12, v1, v6, 1.0
	v_sub_f32_e32 v1, 1.0, v1
	v_mov_b32_e32 v6, 0xc0100000
	v_cvt_f32_i32_e32 v4, v2
	v_fmac_f32_e32 v6, 0x3fa00000, v1
	v_mul_f32_e32 v6, v1, v6
	v_fma_f32 v13, v1, v6, 1.0
	v_add_f32_e32 v1, 1.0, v1
	v_mov_b32_e32 v6, 0x40700000
	v_fmac_f32_e32 v6, 0xbf400000, v1
	v_sub_f32_e32 v0, v0, v4
	v_fma_f32 v6, v1, v6, v18
	v_fma_f32 v14, v1, v6, v10
	v_add_f32_e32 v1, 1.0, v0
	v_mov_b32_e32 v6, 0x40700000
	v_fmac_f32_e32 v6, 0xbf400000, v1
	v_fma_f32 v6, v1, v6, v18
	v_fma_f32 v15, v1, v6, v10
	v_mov_b32_e32 v1, 0xc0100000
	v_fmac_f32_e32 v1, 0x3fa00000, v0
	v_mul_f32_e32 v1, v0, v1
	v_mov_b32_e32 v3, 0xc0100000
	v_fma_f32 v16, v0, v1, 1.0
	v_sub_f32_e32 v0, 1.0, v0
	v_fmac_f32_e32 v3, 0x3fa00000, v0
	v_min_i32_e32 v5, s2, v5
	v_mul_f32_e32 v1, v0, v3
	s_load_dwordx8 s[16:23], s[4:5], 0x80
	v_max_i32_e32 v25, 0, v5
	v_mov_b32_e32 v5, 0x40700000
	v_fma_f32 v17, v0, v1, 1.0
	v_add_f32_e32 v0, 1.0, v0
	v_fmac_f32_e32 v5, 0xbf400000, v0
	s_add_i32 s6, s40, -1
	s_load_dwordx2 s[40:41], s[4:5], 0x10
	s_load_dwordx8 s[8:15], s[4:5], 0x38
	s_load_dwordx2 s[0:1], s[4:5], 0x58
	v_fmac_f32_e32 v18, v0, v5
	v_fmac_f32_e32 v10, v0, v18
	v_ashrrev_i32_e32 v0, 31, v9
	s_waitcnt lgkmcnt(0)
	v_mul_lo_u32 v3, s21, v9
	v_mul_lo_u32 v5, s20, v0
	v_mad_u64_u32 v[0:1], s[2:3], s20, v9, 0
	v_add3_u32 v1, v1, v5, v3
	v_lshlrev_b64 v[0:1], 2, v[0:1]
	v_mov_b32_e32 v3, s1
	v_add_co_u32_e32 v5, vcc, s0, v0
	v_ashrrev_i32_e32 v0, 31, v8
	v_addc_co_u32_e32 v3, vcc, v3, v1, vcc
	v_mul_lo_u32 v6, s23, v8
	v_mul_lo_u32 v18, s22, v0
	v_mad_u64_u32 v[0:1], s[0:1], s22, v8, 0
	v_add3_u32 v1, v1, v18, v6
	v_lshlrev_b64 v[0:1], 2, v[0:1]
	v_add_u32_e32 v4, -1, v2
	v_add_co_u32_e32 v0, vcc, v5, v0
	v_addc_co_u32_e32 v1, vcc, v3, v1, vcc
	v_min_i32_e32 v3, s6, v4
	v_max_i32_e32 v5, 0, v3
	v_min_i32_e32 v3, s6, v2
	v_max_i32_e32 v28, 0, v3
	v_add_u32_e32 v3, 1, v2
	v_add_u32_e32 v2, 2, v2
	v_min_i32_e32 v3, s6, v3
	v_min_i32_e32 v2, s6, v2
	v_max_i32_e32 v35, 0, v3
	v_max_i32_e32 v43, 0, v2
	v_mad_u64_u32 v[2:3], s[0:1], s12, v5, 0
	v_mov_b32_e32 v4, v3
	v_mad_u64_u32 v[4:5], s[0:1], s13, v5, v[4:5]
	v_mov_b32_e32 v3, v4
	;; [unrolled: 2-line block ×5, first 2 shown]
	v_mad_u64_u32 v[22:23], s[0:1], s14, v25, 0
	v_lshlrev_b64 v[2:3], 2, v[2:3]
	v_lshlrev_b64 v[4:5], 2, v[4:5]
	v_mad_u64_u32 v[20:21], s[0:1], s15, v21, v[20:21]
	v_mov_b32_e32 v24, v23
	v_add_co_u32_e32 v18, vcc, v2, v4
	v_mov_b32_e32 v7, v20
	v_mad_u64_u32 v[24:25], s[0:1], s15, v25, v[24:25]
	v_addc_co_u32_e32 v19, vcc, v3, v5, vcc
	v_lshlrev_b64 v[6:7], 2, v[6:7]
	v_mov_b32_e32 v23, v24
	v_mad_u64_u32 v[24:25], s[0:1], s14, v27, 0
	v_add_co_u32_e32 v20, vcc, v6, v2
	v_mov_b32_e32 v26, v25
	v_addc_co_u32_e32 v21, vcc, v7, v3, vcc
	v_lshlrev_b64 v[46:47], 2, v[22:23]
	v_mad_u64_u32 v[26:27], s[0:1], s15, v27, v[26:27]
	v_add_co_u32_e32 v22, vcc, v2, v46
	v_mov_b32_e32 v25, v26
	v_addc_co_u32_e32 v23, vcc, v3, v47, vcc
	v_lshlrev_b64 v[48:49], 2, v[24:25]
	v_add_co_u32_e32 v24, vcc, v2, v48
	v_addc_co_u32_e32 v25, vcc, v3, v49, vcc
	v_mad_u64_u32 v[2:3], s[0:1], s12, v28, 0
	v_mov_b32_e32 v26, v3
	v_mad_u64_u32 v[26:27], s[0:1], s13, v28, v[26:27]
	v_mov_b32_e32 v3, v26
	v_lshlrev_b64 v[2:3], 2, v[2:3]
	v_add_co_u32_e32 v26, vcc, v2, v4
	v_addc_co_u32_e32 v27, vcc, v3, v5, vcc
	v_add_co_u32_e32 v28, vcc, v2, v6
	v_addc_co_u32_e32 v29, vcc, v3, v7, vcc
	v_add_co_u32_e32 v30, vcc, v2, v46
	v_addc_co_u32_e32 v31, vcc, v3, v47, vcc
	v_add_co_u32_e32 v32, vcc, v2, v48
	v_addc_co_u32_e32 v33, vcc, v3, v49, vcc
	v_mad_u64_u32 v[2:3], s[0:1], s12, v35, 0
	v_mov_b32_e32 v34, v3
	v_mad_u64_u32 v[34:35], s[0:1], s13, v35, v[34:35]
	v_mov_b32_e32 v3, v34
	v_lshlrev_b64 v[2:3], 2, v[2:3]
	v_add_co_u32_e32 v34, vcc, v4, v2
	v_addc_co_u32_e32 v35, vcc, v5, v3, vcc
	v_add_co_u32_e32 v36, vcc, v6, v2
	v_addc_co_u32_e32 v37, vcc, v7, v3, vcc
	v_add_co_u32_e32 v38, vcc, v2, v46
	v_addc_co_u32_e32 v39, vcc, v3, v47, vcc
	;; [unrolled: 13-line block ×3, first 2 shown]
	v_add_co_u32_e32 v48, vcc, v2, v48
	s_mov_b32 s33, 0
	s_lshl_b64 s[42:43], s[16:17], 2
	s_lshl_b64 s[46:47], s[18:19], 2
	;; [unrolled: 1-line block ×4, first 2 shown]
	v_addc_co_u32_e32 v49, vcc, v3, v49, vcc
	s_branch .LBB3_5
.LBB3_4:                                ;   in Loop: Header=BB3_5 Depth=1
	s_add_i32 s33, s33, 1
	s_add_u32 s40, s40, s48
	v_mov_b32_e32 v2, s43
	s_addc_u32 s41, s41, s49
	v_add_co_u32_e32 v0, vcc, s42, v0
	s_cmp_lg_u32 s33, s36
	v_addc_co_u32_e32 v1, vcc, v1, v2, vcc
	s_cbranch_scc0 .LBB3_7
.LBB3_5:                                ; =>This Loop Header: Depth=1
                                        ;     Child Loop BB3_6 Depth 2
	s_andn2_b64 vcc, exec, s[44:45]
	s_mov_b64 s[52:53], s[40:41]
	v_pk_mov_b32 v[2:3], v[0:1], v[0:1] op_sel:[0,1]
	s_mov_b32 s37, s38
	s_cbranch_vccnz .LBB3_4
.LBB3_6:                                ;   Parent Loop BB3_5 Depth=1
                                        ; =>  This Inner Loop Header: Depth=2
	v_mov_b32_e32 v75, s53
	v_add_co_u32_e32 v4, vcc, s52, v20
	v_add_co_u32_e64 v50, s[0:1], s52, v22
	v_add_co_u32_e64 v6, s[2:3], s52, v24
	;; [unrolled: 1-line block ×15, first 2 shown]
	v_addc_co_u32_e32 v5, vcc, v75, v21, vcc
	v_addc_co_u32_e64 v51, vcc, v75, v23, s[0:1]
	v_addc_co_u32_e64 v7, vcc, v75, v25, s[2:3]
	;; [unrolled: 1-line block ×7, first 2 shown]
	v_addc_co_u32_e64 v77, s[30:31], v75, v19, s[30:31]
	v_addc_co_u32_e64 v61, vcc, v75, v35, s[14:15]
	v_addc_co_u32_e64 v63, vcc, v75, v37, s[16:17]
	;; [unrolled: 1-line block ×7, first 2 shown]
	global_load_dword v70, v[70:71], off
	s_nop 0
	global_load_dword v50, v[50:51], off
	s_nop 0
	;; [unrolled: 2-line block ×8, first 2 shown]
	global_load_dword v5, v[76:77], off
	global_load_dword v7, v[62:63], off
	;; [unrolled: 1-line block ×7, first 2 shown]
	s_nop 0
	global_load_dword v60, v[68:69], off
	s_add_i32 s37, s37, -1
	s_add_u32 s52, s52, s50
	v_mov_b32_e32 v61, s47
	s_addc_u32 s53, s53, s51
	s_cmp_lg_u32 s37, 0
	s_waitcnt vmcnt(15)
	v_mul_f32_e32 v62, v12, v70
	s_waitcnt vmcnt(11)
	v_mul_f32_e32 v54, v12, v54
	s_waitcnt vmcnt(10)
	v_fmac_f32_e32 v54, v11, v52
	v_fmac_f32_e32 v54, v13, v51
	s_waitcnt vmcnt(8)
	v_mul_f32_e32 v4, v12, v4
	s_waitcnt vmcnt(7)
	v_fmac_f32_e32 v4, v11, v5
	s_waitcnt vmcnt(6)
	v_mul_f32_e32 v7, v12, v7
	v_fmac_f32_e32 v4, v13, v50
	v_fmac_f32_e32 v4, v14, v6
	s_waitcnt vmcnt(3)
	v_fmac_f32_e32 v7, v11, v57
	v_fmac_f32_e32 v7, v13, v53
	;; [unrolled: 1-line block ×3, first 2 shown]
	s_waitcnt vmcnt(0)
	v_fmac_f32_e32 v62, v11, v60
	v_mul_f32_e32 v4, v15, v4
	v_fmac_f32_e32 v62, v13, v58
	v_fmac_f32_e32 v7, v14, v55
	;; [unrolled: 1-line block ×6, first 2 shown]
	global_store_dword v[2:3], v4, off
	v_add_co_u32_e32 v2, vcc, s46, v2
	v_addc_co_u32_e32 v3, vcc, v3, v61, vcc
	s_cbranch_scc1 .LBB3_6
	s_branch .LBB3_4
.LBB3_7:
	s_mov_b64 s[6:7], 0
.LBB3_8:
	s_andn2_b64 vcc, exec, s[6:7]
	s_cbranch_vccnz .LBB3_14
; %bb.9:
	s_andn2_b64 vcc, exec, s[34:35]
	s_cbranch_vccnz .LBB3_14
; %bb.10:
	s_load_dwordx8 s[8:15], s[4:5], 0x38
	s_load_dwordx2 s[0:1], s[4:5], 0x10
	s_load_dwordx2 s[2:3], s[4:5], 0x58
	v_ashrrev_i32_e32 v2, 31, v9
	v_ashrrev_i32_e32 v5, 31, v8
	s_load_dwordx8 s[20:27], s[4:5], 0x80
	s_waitcnt lgkmcnt(0)
	v_mul_lo_u32 v3, s13, v9
	v_mul_lo_u32 v4, s12, v2
	v_mad_u64_u32 v[0:1], s[6:7], s12, v9, 0
	v_add3_u32 v1, v1, v4, v3
	v_lshlrev_b64 v[0:1], 2, v[0:1]
	v_mov_b32_e32 v3, s1
	v_add_co_u32_e32 v4, vcc, s0, v0
	v_addc_co_u32_e32 v3, vcc, v3, v1, vcc
	v_mul_lo_u32 v6, s15, v8
	v_mul_lo_u32 v7, s14, v5
	v_mad_u64_u32 v[0:1], s[0:1], s14, v8, 0
	v_add3_u32 v1, v1, v7, v6
	v_lshlrev_b64 v[0:1], 2, v[0:1]
	v_add_co_u32_e32 v0, vcc, v4, v0
	v_addc_co_u32_e32 v1, vcc, v3, v1, vcc
	v_mul_lo_u32 v4, s25, v9
	v_mul_lo_u32 v6, s24, v2
	v_mad_u64_u32 v[2:3], s[0:1], s24, v9, 0
	v_add3_u32 v3, v3, v6, v4
	v_lshlrev_b64 v[2:3], 2, v[2:3]
	v_mov_b32_e32 v4, s3
	v_add_co_u32_e32 v6, vcc, s2, v2
	v_addc_co_u32_e32 v4, vcc, v4, v3, vcc
	v_mul_lo_u32 v7, s27, v8
	v_mul_lo_u32 v5, s26, v5
	v_mad_u64_u32 v[2:3], s[0:1], s26, v8, 0
	v_add3_u32 v3, v3, v5, v7
	s_cmp_gt_i32 s38, 0
	v_lshlrev_b64 v[2:3], 2, v[2:3]
	v_add_co_u32_e32 v2, vcc, v6, v2
	s_cselect_b64 s[0:1], -1, 0
	v_addc_co_u32_e32 v3, vcc, v4, v3, vcc
	s_lshl_b64 s[2:3], s[20:21], 2
	s_lshl_b64 s[6:7], s[8:9], 2
	v_cndmask_b32_e64 v4, 0, 1, s[0:1]
	s_mov_b32 s16, 0
	s_lshl_b64 s[4:5], s[22:23], 2
	s_lshl_b64 s[8:9], s[10:11], 2
	v_cmp_ne_u32_e64 s[0:1], 1, v4
	v_mov_b32_e32 v8, s3
	v_mov_b32_e32 v9, s7
	s_branch .LBB3_12
.LBB3_11:                               ;   in Loop: Header=BB3_12 Depth=1
	v_add_co_u32_e32 v2, vcc, s2, v2
	v_addc_co_u32_e32 v3, vcc, v3, v8, vcc
	s_add_i32 s16, s16, 1
	v_add_co_u32_e32 v0, vcc, s6, v0
	s_cmp_eq_u32 s16, s36
	v_addc_co_u32_e32 v1, vcc, v1, v9, vcc
	s_cbranch_scc1 .LBB3_14
.LBB3_12:                               ; =>This Loop Header: Depth=1
                                        ;     Child Loop BB3_13 Depth 2
	s_and_b64 vcc, exec, s[0:1]
	v_pk_mov_b32 v[4:5], v[0:1], v[0:1] op_sel:[0,1]
	v_pk_mov_b32 v[6:7], v[2:3], v[2:3] op_sel:[0,1]
	s_mov_b32 s3, s38
	s_cbranch_vccnz .LBB3_11
.LBB3_13:                               ;   Parent Loop BB3_12 Depth=1
                                        ; =>  This Inner Loop Header: Depth=2
	global_load_dword v10, v[4:5], off
	v_mov_b32_e32 v12, s9
	v_add_co_u32_e32 v4, vcc, s8, v4
	v_addc_co_u32_e32 v5, vcc, v5, v12, vcc
	s_add_i32 s3, s3, -1
	v_mov_b32_e32 v11, s5
	s_cmp_eq_u32 s3, 0
	s_waitcnt vmcnt(0)
	global_store_dword v[6:7], v10, off
	v_add_co_u32_e32 v6, vcc, s4, v6
	v_addc_co_u32_e32 v7, vcc, v7, v11, vcc
	s_cbranch_scc0 .LBB3_13
	s_branch .LBB3_11
.LBB3_14:
	s_endpgm
	.section	.rodata,"a",@progbits
	.p2align	6, 0x0
	.amdhsa_kernel _ZN2at6native12_GLOBAL__N_128upsample_bicubic2d_out_frameIffEEviT0_S3_bN5torch10headeronly6detail27GenericPackedTensorAccessorINS6_14TensorAccessorIN3c108ArrayRefIlEEKT_Lm3ENS5_16DefaultPtrTraitsElEENS_6detail16IndexBoundsCheckILm4ElEESD_Lm4ESE_lEENS7_INS8_ISB_SC_Lm3ESE_lEESI_SC_Lm4ESE_lEE
		.amdhsa_group_segment_fixed_size 0
		.amdhsa_private_segment_fixed_size 0
		.amdhsa_kernarg_size 416
		.amdhsa_user_sgpr_count 6
		.amdhsa_user_sgpr_private_segment_buffer 1
		.amdhsa_user_sgpr_dispatch_ptr 0
		.amdhsa_user_sgpr_queue_ptr 0
		.amdhsa_user_sgpr_kernarg_segment_ptr 1
		.amdhsa_user_sgpr_dispatch_id 0
		.amdhsa_user_sgpr_flat_scratch_init 0
		.amdhsa_user_sgpr_kernarg_preload_length 0
		.amdhsa_user_sgpr_kernarg_preload_offset 0
		.amdhsa_user_sgpr_private_segment_size 0
		.amdhsa_uses_dynamic_stack 0
		.amdhsa_system_sgpr_private_segment_wavefront_offset 0
		.amdhsa_system_sgpr_workgroup_id_x 1
		.amdhsa_system_sgpr_workgroup_id_y 0
		.amdhsa_system_sgpr_workgroup_id_z 0
		.amdhsa_system_sgpr_workgroup_info 0
		.amdhsa_system_vgpr_workitem_id 0
		.amdhsa_next_free_vgpr 78
		.amdhsa_next_free_sgpr 54
		.amdhsa_accum_offset 80
		.amdhsa_reserve_vcc 1
		.amdhsa_reserve_flat_scratch 0
		.amdhsa_float_round_mode_32 0
		.amdhsa_float_round_mode_16_64 0
		.amdhsa_float_denorm_mode_32 3
		.amdhsa_float_denorm_mode_16_64 3
		.amdhsa_dx10_clamp 1
		.amdhsa_ieee_mode 1
		.amdhsa_fp16_overflow 0
		.amdhsa_tg_split 0
		.amdhsa_exception_fp_ieee_invalid_op 0
		.amdhsa_exception_fp_denorm_src 0
		.amdhsa_exception_fp_ieee_div_zero 0
		.amdhsa_exception_fp_ieee_overflow 0
		.amdhsa_exception_fp_ieee_underflow 0
		.amdhsa_exception_fp_ieee_inexact 0
		.amdhsa_exception_int_div_zero 0
	.end_amdhsa_kernel
	.section	.text._ZN2at6native12_GLOBAL__N_128upsample_bicubic2d_out_frameIffEEviT0_S3_bN5torch10headeronly6detail27GenericPackedTensorAccessorINS6_14TensorAccessorIN3c108ArrayRefIlEEKT_Lm3ENS5_16DefaultPtrTraitsElEENS_6detail16IndexBoundsCheckILm4ElEESD_Lm4ESE_lEENS7_INS8_ISB_SC_Lm3ESE_lEESI_SC_Lm4ESE_lEE,"axG",@progbits,_ZN2at6native12_GLOBAL__N_128upsample_bicubic2d_out_frameIffEEviT0_S3_bN5torch10headeronly6detail27GenericPackedTensorAccessorINS6_14TensorAccessorIN3c108ArrayRefIlEEKT_Lm3ENS5_16DefaultPtrTraitsElEENS_6detail16IndexBoundsCheckILm4ElEESD_Lm4ESE_lEENS7_INS8_ISB_SC_Lm3ESE_lEESI_SC_Lm4ESE_lEE,comdat
.Lfunc_end3:
	.size	_ZN2at6native12_GLOBAL__N_128upsample_bicubic2d_out_frameIffEEviT0_S3_bN5torch10headeronly6detail27GenericPackedTensorAccessorINS6_14TensorAccessorIN3c108ArrayRefIlEEKT_Lm3ENS5_16DefaultPtrTraitsElEENS_6detail16IndexBoundsCheckILm4ElEESD_Lm4ESE_lEENS7_INS8_ISB_SC_Lm3ESE_lEESI_SC_Lm4ESE_lEE, .Lfunc_end3-_ZN2at6native12_GLOBAL__N_128upsample_bicubic2d_out_frameIffEEviT0_S3_bN5torch10headeronly6detail27GenericPackedTensorAccessorINS6_14TensorAccessorIN3c108ArrayRefIlEEKT_Lm3ENS5_16DefaultPtrTraitsElEENS_6detail16IndexBoundsCheckILm4ElEESD_Lm4ESE_lEENS7_INS8_ISB_SC_Lm3ESE_lEESI_SC_Lm4ESE_lEE
                                        ; -- End function
	.section	.AMDGPU.csdata,"",@progbits
; Kernel info:
; codeLenInByte = 2336
; NumSgprs: 58
; NumVgprs: 78
; NumAgprs: 0
; TotalNumVgprs: 78
; ScratchSize: 0
; MemoryBound: 0
; FloatMode: 240
; IeeeMode: 1
; LDSByteSize: 0 bytes/workgroup (compile time only)
; SGPRBlocks: 7
; VGPRBlocks: 9
; NumSGPRsForWavesPerEU: 58
; NumVGPRsForWavesPerEU: 78
; AccumOffset: 80
; Occupancy: 6
; WaveLimiterHint : 1
; COMPUTE_PGM_RSRC2:SCRATCH_EN: 0
; COMPUTE_PGM_RSRC2:USER_SGPR: 6
; COMPUTE_PGM_RSRC2:TRAP_HANDLER: 0
; COMPUTE_PGM_RSRC2:TGID_X_EN: 1
; COMPUTE_PGM_RSRC2:TGID_Y_EN: 0
; COMPUTE_PGM_RSRC2:TGID_Z_EN: 0
; COMPUTE_PGM_RSRC2:TIDIG_COMP_CNT: 0
; COMPUTE_PGM_RSRC3_GFX90A:ACCUM_OFFSET: 19
; COMPUTE_PGM_RSRC3_GFX90A:TG_SPLIT: 0
	.section	.text._ZN2at6native12_GLOBAL__N_137upsample_bicubic2d_out_frame_parallelIN3c104HalfEfEEviT0_S5_bN5torch10headeronly6detail27GenericPackedTensorAccessorINS8_14TensorAccessorINS3_8ArrayRefIlEEKT_Lm3ENS7_16DefaultPtrTraitsElEENS_6detail16IndexBoundsCheckILm4ElEESE_Lm4ESF_lEENS9_INSA_ISC_SD_Lm3ESF_lEESJ_SD_Lm4ESF_lEE,"axG",@progbits,_ZN2at6native12_GLOBAL__N_137upsample_bicubic2d_out_frame_parallelIN3c104HalfEfEEviT0_S5_bN5torch10headeronly6detail27GenericPackedTensorAccessorINS8_14TensorAccessorINS3_8ArrayRefIlEEKT_Lm3ENS7_16DefaultPtrTraitsElEENS_6detail16IndexBoundsCheckILm4ElEESE_Lm4ESF_lEENS9_INSA_ISC_SD_Lm3ESF_lEESJ_SD_Lm4ESF_lEE,comdat
	.globl	_ZN2at6native12_GLOBAL__N_137upsample_bicubic2d_out_frame_parallelIN3c104HalfEfEEviT0_S5_bN5torch10headeronly6detail27GenericPackedTensorAccessorINS8_14TensorAccessorINS3_8ArrayRefIlEEKT_Lm3ENS7_16DefaultPtrTraitsElEENS_6detail16IndexBoundsCheckILm4ElEESE_Lm4ESF_lEENS9_INSA_ISC_SD_Lm3ESF_lEESJ_SD_Lm4ESF_lEE ; -- Begin function _ZN2at6native12_GLOBAL__N_137upsample_bicubic2d_out_frame_parallelIN3c104HalfEfEEviT0_S5_bN5torch10headeronly6detail27GenericPackedTensorAccessorINS8_14TensorAccessorINS3_8ArrayRefIlEEKT_Lm3ENS7_16DefaultPtrTraitsElEENS_6detail16IndexBoundsCheckILm4ElEESE_Lm4ESF_lEENS9_INSA_ISC_SD_Lm3ESF_lEESJ_SD_Lm4ESF_lEE
	.p2align	8
	.type	_ZN2at6native12_GLOBAL__N_137upsample_bicubic2d_out_frame_parallelIN3c104HalfEfEEviT0_S5_bN5torch10headeronly6detail27GenericPackedTensorAccessorINS8_14TensorAccessorINS3_8ArrayRefIlEEKT_Lm3ENS7_16DefaultPtrTraitsElEENS_6detail16IndexBoundsCheckILm4ElEESE_Lm4ESF_lEENS9_INSA_ISC_SD_Lm3ESF_lEESJ_SD_Lm4ESF_lEE,@function
_ZN2at6native12_GLOBAL__N_137upsample_bicubic2d_out_frame_parallelIN3c104HalfEfEEviT0_S5_bN5torch10headeronly6detail27GenericPackedTensorAccessorINS8_14TensorAccessorINS3_8ArrayRefIlEEKT_Lm3ENS7_16DefaultPtrTraitsElEENS_6detail16IndexBoundsCheckILm4ElEESE_Lm4ESF_lEENS9_INSA_ISC_SD_Lm3ESF_lEESJ_SD_Lm4ESF_lEE: ; @_ZN2at6native12_GLOBAL__N_137upsample_bicubic2d_out_frame_parallelIN3c104HalfEfEEviT0_S5_bN5torch10headeronly6detail27GenericPackedTensorAccessorINS8_14TensorAccessorINS3_8ArrayRefIlEEKT_Lm3ENS7_16DefaultPtrTraitsElEENS_6detail16IndexBoundsCheckILm4ElEESE_Lm4ESF_lEENS9_INSA_ISC_SD_Lm3ESF_lEESJ_SD_Lm4ESF_lEE
; %bb.0:
	s_load_dword s0, s[4:5], 0xac
	s_load_dwordx4 s[8:11], s[4:5], 0x0
	s_add_u32 s30, s4, 0xa0
	s_addc_u32 s31, s5, 0
	s_waitcnt lgkmcnt(0)
	s_and_b32 s0, s0, 0xffff
	s_mul_i32 s6, s6, s0
	v_add_u32_e32 v0, s6, v0
	v_cmp_gt_i32_e32 vcc, s8, v0
	s_and_saveexec_b64 s[0:1], vcc
	s_cbranch_execz .LBB4_10
; %bb.1:
	s_load_dwordx4 s[0:3], s[4:5], 0x70
	v_sub_u32_e32 v2, 0, v0
	v_max_i32_e32 v2, v0, v2
	s_load_dword s6, s[4:5], 0x18
	s_load_dwordx4 s[52:55], s[4:5], 0x20
	s_load_dword s8, s[4:5], 0x30
	s_waitcnt lgkmcnt(0)
	s_abs_i32 s1, s2
	v_cvt_f32_u32_e32 v1, s1
	s_sub_i32 s3, 0, s1
	v_xor_b32_e32 v3, s2, v0
	v_ashrrev_i32_e32 v3, 31, v3
	v_rcp_iflag_f32_e32 v1, v1
	s_cmp_lg_u32 s54, s0
	s_mul_i32 s6, s52, s6
	v_mul_f32_e32 v1, 0x4f7ffffe, v1
	v_cvt_u32_f32_e32 v1, v1
	v_mul_lo_u32 v4, s3, v1
	v_mul_hi_u32 v4, v1, v4
	v_add_u32_e32 v1, v1, v4
	v_mul_hi_u32 v1, v2, v1
	v_mul_lo_u32 v4, v1, s1
	v_sub_u32_e32 v2, v2, v4
	v_add_u32_e32 v5, 1, v1
	v_cmp_le_u32_e32 vcc, s1, v2
	v_subrev_u32_e32 v4, s1, v2
	v_cndmask_b32_e32 v1, v1, v5, vcc
	v_cndmask_b32_e32 v2, v2, v4, vcc
	v_add_u32_e32 v4, 1, v1
	v_cmp_le_u32_e32 vcc, s1, v2
	v_cndmask_b32_e32 v1, v1, v4, vcc
	v_xor_b32_e32 v1, v1, v3
	v_sub_u32_e32 v21, v1, v3
	s_cselect_b64 s[0:1], -1, 0
	s_cmp_lg_u32 s8, s2
	v_mul_lo_u32 v1, v21, s2
	s_cselect_b64 s[2:3], -1, 0
	s_or_b64 s[0:1], s[2:3], s[0:1]
	s_cmp_lt_i32 s7, s6
	s_cselect_b64 s[12:13], -1, 0
	v_sub_u32_e32 v20, v0, v1
	v_cndmask_b32_e64 v0, 0, 1, s[12:13]
	s_mov_b64 s[2:3], -1
	s_and_b64 vcc, exec, s[0:1]
	v_cmp_ne_u32_e64 s[0:1], 1, v0
	s_cbranch_vccz .LBB4_6
; %bb.2:
	s_and_b64 vcc, exec, s[0:1]
	s_cbranch_vccnz .LBB4_5
; %bb.3:
	v_cvt_f32_i32_e32 v0, v21
	s_bitcmp1_b32 s11, 0
	v_cvt_f32_i32_e32 v1, v20
	s_cselect_b64 vcc, -1, 0
	v_mul_f32_e32 v2, s9, v0
	v_add_f32_e32 v0, 0.5, v0
	v_fma_f32 v0, v0, s9, -0.5
	v_cndmask_b32_e32 v0, v0, v2, vcc
	v_floor_f32_e32 v2, v0
	v_cvt_i32_f32_e32 v30, v2
	v_mul_f32_e32 v2, s10, v1
	v_add_f32_e32 v1, 0.5, v1
	v_fma_f32 v1, v1, s10, -0.5
	v_cndmask_b32_e32 v1, v1, v2, vcc
	v_floor_f32_e32 v2, v1
	v_cvt_i32_f32_e32 v8, v2
	v_cvt_f32_i32_e32 v2, v30
	s_load_dwordx8 s[36:43], s[4:5], 0x38
	s_add_i32 s8, s8, -1
	v_cvt_f32_i32_e32 v3, v8
	v_sub_f32_e32 v10, v0, v2
	v_add_u32_e32 v0, -1, v8
	v_min_i32_e32 v0, s8, v0
	v_sub_f32_e32 v11, v1, v3
	v_max_i32_e32 v1, 0, v0
	s_waitcnt lgkmcnt(0)
	v_mad_u64_u32 v[2:3], s[2:3], s42, v1, 0
	v_mov_b32_e32 v0, v3
	v_mad_u64_u32 v[0:1], s[2:3], s43, v1, v[0:1]
	v_mov_b32_e32 v3, v0
	v_min_i32_e32 v0, s8, v8
	v_max_i32_e32 v1, 0, v0
	v_mad_u64_u32 v[4:5], s[2:3], s42, v1, 0
	v_mov_b32_e32 v0, v5
	v_mad_u64_u32 v[0:1], s[2:3], s43, v1, v[0:1]
	v_mov_b32_e32 v5, v0
	v_add_u32_e32 v0, 1, v8
	v_min_i32_e32 v0, s8, v0
	v_max_i32_e32 v1, 0, v0
	v_mad_u64_u32 v[6:7], s[2:3], s42, v1, 0
	v_mov_b32_e32 v0, v7
	v_mad_u64_u32 v[0:1], s[2:3], s43, v1, v[0:1]
	v_mov_b32_e32 v7, v0
	v_add_u32_e32 v0, 2, v8
	v_min_i32_e32 v0, s8, v0
	v_max_i32_e32 v1, 0, v0
	v_mad_u64_u32 v[8:9], s[2:3], s42, v1, 0
	v_mov_b32_e32 v0, v9
	v_mad_u64_u32 v[0:1], s[2:3], s43, v1, v[0:1]
	v_mov_b32_e32 v9, v0
	v_add_f32_e32 v0, 1.0, v11
	v_mov_b32_e32 v13, 0x40700000
	v_fmac_f32_e32 v13, 0xbf400000, v0
	v_mov_b32_e32 v14, 0xc0c00000
	v_fma_f32 v13, v0, v13, v14
	v_mov_b32_e32 v22, 0x40400000
	v_fma_f32 v23, v0, v13, v22
	v_mov_b32_e32 v13, 0xc0100000
	v_fmac_f32_e32 v13, 0x3fa00000, v11
	v_mul_f32_e32 v13, v11, v13
	v_fma_f32 v24, v11, v13, 1.0
	v_sub_f32_e32 v11, 1.0, v11
	v_mov_b32_e32 v13, 0xc0100000
	v_fmac_f32_e32 v13, 0x3fa00000, v11
	v_mul_f32_e32 v13, v11, v13
	v_fma_f32 v25, v11, v13, 1.0
	v_add_f32_e32 v11, 1.0, v11
	v_mov_b32_e32 v13, 0x40700000
	v_fmac_f32_e32 v13, 0xbf400000, v11
	v_fma_f32 v13, v11, v13, v14
	v_fma_f32 v26, v11, v13, v22
	v_add_f32_e32 v11, 1.0, v10
	v_mov_b32_e32 v13, 0x40700000
	v_fmac_f32_e32 v13, 0xbf400000, v11
	v_fma_f32 v13, v11, v13, v14
	v_fma_f32 v27, v11, v13, v22
	v_mov_b32_e32 v11, 0xc0100000
	v_fmac_f32_e32 v11, 0x3fa00000, v10
	v_mul_f32_e32 v11, v10, v11
	v_mov_b32_e32 v0, 0xc0100000
	v_fma_f32 v28, v10, v11, 1.0
	v_sub_f32_e32 v10, 1.0, v10
	v_fmac_f32_e32 v0, 0x3fa00000, v10
	v_mul_f32_e32 v0, v10, v0
	s_load_dwordx8 s[44:51], s[4:5], 0x80
	v_mov_b32_e32 v1, 0x40700000
	v_fma_f32 v29, v10, v0, 1.0
	v_add_f32_e32 v0, 1.0, v10
	v_fmac_f32_e32 v1, 0xbf400000, v0
	v_fmac_f32_e32 v14, v0, v1
	;; [unrolled: 1-line block ×3, first 2 shown]
	v_ashrrev_i32_e32 v0, 31, v21
	s_waitcnt lgkmcnt(0)
	v_mul_lo_u32 v1, s49, v21
	v_mul_lo_u32 v0, s48, v0
	v_mad_u64_u32 v[16:17], s[2:3], s48, v21, 0
	v_add3_u32 v17, v17, v0, v1
	v_ashrrev_i32_e32 v0, 31, v20
	v_add_u32_e32 v12, -1, v30
	s_add_i32 s9, s54, -1
	v_mul_lo_u32 v1, s51, v20
	v_mul_lo_u32 v0, s50, v0
	v_mad_u64_u32 v[18:19], s[2:3], s50, v20, 0
	v_add3_u32 v19, v19, v0, v1
	v_min_i32_e32 v0, s9, v12
	v_max_i32_e32 v11, 0, v0
	v_mad_u64_u32 v[0:1], s[2:3], s40, v11, 0
	v_mov_b32_e32 v10, v1
	v_mad_u64_u32 v[10:11], s[2:3], s41, v11, v[10:11]
	v_mov_b32_e32 v1, v10
	v_min_i32_e32 v10, s9, v30
	v_max_i32_e32 v13, 0, v10
	v_mad_u64_u32 v[10:11], s[2:3], s40, v13, 0
	v_mov_b32_e32 v12, v11
	v_mad_u64_u32 v[12:13], s[2:3], s41, v13, v[12:13]
	v_mov_b32_e32 v11, v12
	v_add_u32_e32 v12, 1, v30
	v_min_i32_e32 v12, s9, v12
	v_max_i32_e32 v15, 0, v12
	v_mad_u64_u32 v[12:13], s[2:3], s40, v15, 0
	v_mov_b32_e32 v14, v13
	v_mad_u64_u32 v[14:15], s[2:3], s41, v15, v[14:15]
	s_abs_i32 s42, s52
	v_mov_b32_e32 v13, v14
	v_add_u32_e32 v14, 2, v30
	v_cvt_f32_u32_e32 v30, s42
	v_min_i32_e32 v14, s9, v14
	v_max_i32_e32 v31, 0, v14
	v_mad_u64_u32 v[14:15], s[2:3], s40, v31, 0
	v_rcp_iflag_f32_e32 v32, v30
	v_mov_b32_e32 v30, v15
	v_mad_u64_u32 v[30:31], s[2:3], s41, v31, v[30:31]
	v_mul_f32_e32 v15, 0x4f7ffffe, v32
	v_cvt_u32_f32_e32 v31, v15
	s_load_dwordx2 s[34:35], s[4:5], 0x10
	s_load_dwordx2 s[54:55], s[4:5], 0x58
	s_load_dword s33, s[30:31], 0x8
	s_sub_i32 s2, 0, s42
	v_readfirstlane_b32 s3, v31
	s_mul_i32 s2, s2, s3
	v_mov_b32_e32 v15, v30
	s_mul_hi_u32 s2, s3, s2
	s_ashr_i32 s40, s52, 31
	s_add_i32 s41, s3, s2
	s_sub_i32 s43, 0, s52
	v_lshlrev_b64 v[0:1], 1, v[0:1]
	v_lshlrev_b64 v[2:3], 1, v[2:3]
	;; [unrolled: 1-line block ×10, first 2 shown]
	s_mov_b32 s48, s7
.LBB4_4:                                ; =>This Inner Loop Header: Depth=1
	s_abs_i32 s3, s48
	s_mul_hi_u32 s8, s3, s41
	s_mul_i32 s9, s8, s42
	s_ashr_i32 s2, s48, 31
	s_sub_i32 s3, s3, s9
	s_xor_b32 s2, s2, s40
	s_add_i32 s10, s8, 1
	s_sub_i32 s9, s3, s42
	s_cmp_ge_u32 s3, s42
	s_cselect_b32 s8, s10, s8
	s_cselect_b32 s3, s9, s3
	s_add_i32 s9, s8, 1
	s_cmp_ge_u32 s3, s42
	s_cselect_b32 s3, s9, s8
	s_xor_b32 s3, s3, s2
	s_sub_i32 s50, s3, s2
	s_mul_i32 s3, s43, s50
	s_ashr_i32 s51, s50, 31
	s_mul_hi_u32 s8, s36, s50
	s_add_i32 s49, s48, s3
	s_mul_i32 s3, s36, s51
	s_mul_i32 s9, s37, s50
	s_add_i32 s3, s8, s3
	s_mul_i32 s2, s36, s50
	s_add_i32 s3, s3, s9
	s_lshl_b64 s[2:3], s[2:3], 1
	s_waitcnt lgkmcnt(0)
	s_add_u32 s12, s34, s2
	s_addc_u32 s13, s35, s3
	s_ashr_i32 s53, s49, 31
	s_mul_hi_u32 s10, s38, s49
	s_mul_i32 s2, s38, s53
	s_mul_i32 s11, s39, s49
	s_add_i32 s2, s10, s2
	s_mul_i32 s8, s38, s49
	s_add_i32 s9, s2, s11
	s_lshl_b64 s[2:3], s[8:9], 1
	s_add_u32 s10, s12, s2
	s_addc_u32 s8, s13, s3
	v_mov_b32_e32 v30, s8
	v_mov_b32_e32 v31, s8
	v_add_co_u32_e32 v37, vcc, s10, v10
	v_mov_b32_e32 v33, s8
	v_add_co_u32_e64 v35, s[2:3], s10, v12
	v_mov_b32_e32 v39, s8
	v_add_co_u32_e64 v60, s[8:9], s10, v14
	v_add_co_u32_e64 v41, s[10:11], s10, v0
	v_addc_co_u32_e64 v43, s[10:11], v30, v1, s[10:11]
	v_add_co_u32_e64 v30, s[10:11], v41, v4
	v_add_co_u32_e64 v32, s[12:13], v41, v6
	;; [unrolled: 1-line block ×3, first 2 shown]
	v_addc_co_u32_e64 v49, s[2:3], v33, v13, s[2:3]
	v_addc_co_u32_e32 v45, vcc, v31, v11, vcc
	v_add_co_u32_e64 v42, s[2:3], v35, v2
	v_add_co_u32_e64 v44, s[20:21], v35, v4
	;; [unrolled: 1-line block ×4, first 2 shown]
	v_addc_co_u32_e64 v31, s[10:11], v43, v5, s[10:11]
	v_addc_co_u32_e64 v33, s[10:11], v43, v7, s[12:13]
	;; [unrolled: 1-line block ×3, first 2 shown]
	v_add_co_u32_e32 v36, vcc, v37, v4
	v_add_co_u32_e64 v38, s[16:17], v37, v6
	v_add_co_u32_e64 v40, s[18:19], v37, v8
	;; [unrolled: 1-line block ×4, first 2 shown]
	v_addc_co_u32_e64 v61, s[8:9], v39, v15, s[8:9]
	v_addc_co_u32_e64 v55, s[28:29], v43, v3, s[28:29]
	;; [unrolled: 1-line block ×3, first 2 shown]
	v_addc_co_u32_e32 v37, vcc, v45, v5, vcc
	v_addc_co_u32_e64 v39, vcc, v45, v7, s[16:17]
	v_addc_co_u32_e64 v41, vcc, v45, v9, s[18:19]
	;; [unrolled: 1-line block ×6, first 2 shown]
	v_add_co_u32_e64 v50, s[8:9], v60, v4
	v_add_co_u32_e64 v52, s[26:27], v60, v6
	v_add_co_u32_e32 v58, vcc, v60, v2
	v_addc_co_u32_e32 v59, vcc, v61, v3, vcc
	v_addc_co_u32_e64 v51, vcc, v61, v5, s[8:9]
	v_addc_co_u32_e64 v53, vcc, v61, v7, s[26:27]
	v_add_co_u32_e32 v60, vcc, v60, v8
	v_addc_co_u32_e32 v61, vcc, v61, v9, vcc
	global_load_ushort v62, v[30:31], off
	global_load_ushort v63, v[36:37], off
                                        ; kill: killed $vgpr36 killed $vgpr37
                                        ; kill: killed $vgpr30 killed $vgpr31
	s_nop 0
	global_load_ushort v36, v[44:45], off
	global_load_ushort v37, v[50:51], off
	;; [unrolled: 1-line block ×4, first 2 shown]
                                        ; kill: killed $vgpr32 killed $vgpr33
                                        ; kill: killed $vgpr44 killed $vgpr45
                                        ; kill: killed $vgpr54 killed $vgpr55
                                        ; kill: killed $vgpr50 killed $vgpr51
	s_nop 0
	global_load_ushort v32, v[34:35], off
	global_load_ushort v33, v[56:57], off
	;; [unrolled: 1-line block ×8, first 2 shown]
                                        ; kill: killed $vgpr48 killed $vgpr49
                                        ; kill: killed $vgpr56 killed $vgpr57
                                        ; kill: killed $vgpr46 killed $vgpr47
                                        ; kill: killed $vgpr34 killed $vgpr35
                                        ; kill: killed $vgpr42 killed $vgpr43
                                        ; kill: killed $vgpr52 killed $vgpr53
                                        ; kill: killed $vgpr58 killed $vgpr59
                                        ; kill: killed $vgpr38 killed $vgpr39
	global_load_ushort v34, v[40:41], off
	global_load_ushort v35, v[60:61], off
	s_mul_hi_u32 s3, s44, s50
	s_mul_i32 s10, s44, s51
	s_mul_i32 s9, s45, s50
	s_add_i32 s3, s3, s10
	s_mul_i32 s2, s44, s50
	s_add_i32 s3, s3, s9
	s_lshl_b64 s[2:3], s[2:3], 1
	s_mul_hi_u32 s11, s46, s49
	s_mul_i32 s13, s46, s53
	s_add_u32 s10, s54, s2
	s_mul_i32 s12, s47, s49
	s_addc_u32 s14, s55, s3
	s_add_i32 s2, s11, s13
	s_mul_i32 s8, s46, s49
	s_add_i32 s9, s2, s12
	s_lshl_b64 s[2:3], s[8:9], 1
	s_add_u32 s2, s10, s2
	s_addc_u32 s3, s14, s3
	v_mov_b32_e32 v30, s3
	v_add_co_u32_e32 v31, vcc, s2, v16
	v_addc_co_u32_e32 v38, vcc, v30, v17, vcc
	v_add_co_u32_e32 v30, vcc, v31, v18
	v_addc_co_u32_e32 v31, vcc, v38, v19, vcc
	s_add_i32 s48, s48, s33
	s_cmp_lt_i32 s48, s6
	s_waitcnt vmcnt(15)
	v_cvt_f32_f16_e32 v38, v62
	s_waitcnt vmcnt(14)
	v_cvt_f32_f16_e32 v39, v63
	;; [unrolled: 2-line block ×4, first 2 shown]
	v_mul_f32_e32 v38, v24, v38
	v_mul_f32_e32 v39, v24, v39
	s_waitcnt vmcnt(11)
	v_fma_mix_f32 v38, v23, v64, v38 op_sel_hi:[0,1,0]
	v_mul_f32_e32 v36, v24, v36
	s_waitcnt vmcnt(10)
	v_fma_mix_f32 v38, v25, v65, v38 op_sel_hi:[0,1,0]
	;; [unrolled: 3-line block ×3, first 2 shown]
	s_waitcnt vmcnt(8)
	v_fma_mix_f32 v33, v23, v33, v39 op_sel_hi:[0,1,0]
	s_waitcnt vmcnt(7)
	v_fma_mix_f32 v36, v23, v44, v36 op_sel_hi:[0,1,0]
	;; [unrolled: 2-line block ×5, first 2 shown]
	v_mul_f32_e32 v32, v27, v32
	s_waitcnt vmcnt(2)
	v_fma_mix_f32 v37, v25, v55, v37 op_sel_hi:[0,1,0]
	s_waitcnt vmcnt(1)
	v_fma_mix_f32 v33, v26, v34, v33 op_sel_hi:[0,1,0]
	v_fma_mix_f32 v34, v26, v54, v36 op_sel_hi:[0,1,0]
	v_fmac_f32_e32 v32, v28, v33
	s_waitcnt vmcnt(0)
	v_fma_mix_f32 v35, v26, v35, v37 op_sel_hi:[0,1,0]
	v_fmac_f32_e32 v32, v29, v34
	v_fma_mixlo_f16 v32, v22, v35, v32
	global_store_short v[30:31], v32, off
	s_cbranch_scc1 .LBB4_4
.LBB4_5:
	s_mov_b64 s[2:3], 0
.LBB4_6:
	s_andn2_b64 vcc, exec, s[2:3]
	s_cbranch_vccnz .LBB4_10
; %bb.7:
	s_and_b64 vcc, exec, s[0:1]
	s_cbranch_vccnz .LBB4_10
; %bb.8:
	s_load_dwordx8 s[8:15], s[4:5], 0x38
	s_load_dwordx2 s[0:1], s[4:5], 0x10
	s_load_dwordx2 s[2:3], s[4:5], 0x58
	s_load_dwordx8 s[16:23], s[4:5], 0x80
	v_ashrrev_i32_e32 v4, 31, v21
	s_waitcnt lgkmcnt(0)
	v_mul_lo_u32 v2, s13, v21
	v_mul_lo_u32 v3, s12, v4
	v_mad_u64_u32 v[0:1], s[12:13], s12, v21, 0
	v_ashrrev_i32_e32 v6, 31, v20
	v_add3_u32 v1, v1, v3, v2
	v_mul_lo_u32 v5, s15, v20
	v_mul_lo_u32 v7, s14, v6
	v_mad_u64_u32 v[2:3], s[4:5], s14, v20, 0
	v_add3_u32 v3, v3, v7, v5
	v_mul_lo_u32 v8, s20, v4
	v_mad_u64_u32 v[4:5], s[4:5], s20, v21, 0
	s_abs_i32 s4, s52
	v_cvt_f32_u32_e32 v9, s4
	v_mul_lo_u32 v7, s21, v21
	v_add3_u32 v5, v5, v8, v7
	v_mul_lo_u32 v8, s23, v20
	v_rcp_iflag_f32_e32 v9, v9
	v_mul_lo_u32 v10, s22, v6
	v_mad_u64_u32 v[6:7], s[12:13], s22, v20, 0
	v_add3_u32 v7, v7, v10, v8
	v_mul_f32_e32 v8, 0x4f7ffffe, v9
	v_cvt_u32_f32_e32 v8, v8
	s_load_dword s5, s[30:31], 0x8
	s_sub_i32 s13, 0, s4
	s_ashr_i32 s12, s52, 31
	v_readfirstlane_b32 s14, v8
	s_mul_i32 s13, s13, s14
	s_mul_hi_u32 s13, s14, s13
	s_add_i32 s13, s14, s13
	s_sub_i32 s14, 0, s52
	v_lshlrev_b64 v[0:1], 1, v[0:1]
	v_lshlrev_b64 v[2:3], 1, v[2:3]
	;; [unrolled: 1-line block ×4, first 2 shown]
.LBB4_9:                                ; =>This Inner Loop Header: Depth=1
	s_abs_i32 s20, s7
	s_mul_hi_u32 s21, s20, s13
	s_mul_i32 s22, s21, s4
	s_ashr_i32 s15, s7, 31
	s_sub_i32 s20, s20, s22
	s_xor_b32 s15, s15, s12
	s_add_i32 s23, s21, 1
	s_sub_i32 s22, s20, s4
	s_cmp_ge_u32 s20, s4
	s_cselect_b32 s21, s23, s21
	s_cselect_b32 s20, s22, s20
	s_add_i32 s22, s21, 1
	s_cmp_ge_u32 s20, s4
	s_cselect_b32 s20, s22, s21
	s_xor_b32 s20, s20, s15
	s_sub_i32 s15, s20, s15
	s_mul_i32 s21, s14, s15
	s_ashr_i32 s24, s15, 31
	s_mul_hi_u32 s22, s8, s15
	s_add_i32 s25, s7, s21
	s_mul_i32 s21, s8, s24
	s_mul_i32 s23, s9, s15
	s_add_i32 s21, s22, s21
	s_mul_i32 s20, s8, s15
	s_add_i32 s21, s21, s23
	s_lshl_b64 s[20:21], s[20:21], 1
	s_add_u32 s28, s0, s20
	s_addc_u32 s29, s1, s21
	s_ashr_i32 s30, s25, 31
	s_mul_hi_u32 s26, s10, s25
	s_mul_i32 s20, s10, s30
	s_mul_i32 s27, s11, s25
	s_add_i32 s20, s26, s20
	s_mul_i32 s22, s10, s25
	s_add_i32 s23, s20, s27
	s_lshl_b64 s[20:21], s[22:23], 1
	s_add_u32 s20, s28, s20
	s_addc_u32 s21, s29, s21
	v_mov_b32_e32 v8, s21
	v_add_co_u32_e32 v9, vcc, s20, v0
	v_addc_co_u32_e32 v10, vcc, v8, v1, vcc
	v_add_co_u32_e32 v8, vcc, v9, v2
	v_addc_co_u32_e32 v9, vcc, v10, v3, vcc
	global_load_ushort v10, v[8:9], off
	s_mul_hi_u32 s21, s16, s15
	s_mul_i32 s23, s17, s15
	s_mul_i32 s20, s16, s15
	;; [unrolled: 1-line block ×3, first 2 shown]
	s_add_i32 s15, s21, s15
	s_add_i32 s21, s15, s23
	s_lshl_b64 s[20:21], s[20:21], 1
	s_mul_hi_u32 s24, s18, s25
	s_mul_i32 s26, s19, s25
	s_mul_i32 s22, s18, s25
	;; [unrolled: 1-line block ×3, first 2 shown]
	s_add_u32 s15, s2, s20
	s_addc_u32 s27, s3, s21
	s_add_i32 s20, s24, s25
	s_add_i32 s23, s20, s26
	s_lshl_b64 s[20:21], s[22:23], 1
	s_add_u32 s15, s15, s20
	s_addc_u32 s20, s27, s21
	v_mov_b32_e32 v8, s20
	v_add_co_u32_e32 v9, vcc, s15, v4
	v_addc_co_u32_e32 v11, vcc, v8, v5, vcc
	s_waitcnt lgkmcnt(0)
	s_add_i32 s7, s7, s5
	v_add_co_u32_e32 v8, vcc, v9, v6
	s_cmp_ge_i32 s7, s6
	v_addc_co_u32_e32 v9, vcc, v11, v7, vcc
	s_waitcnt vmcnt(0)
	global_store_short v[8:9], v10, off
	s_cbranch_scc0 .LBB4_9
.LBB4_10:
	s_endpgm
	.section	.rodata,"a",@progbits
	.p2align	6, 0x0
	.amdhsa_kernel _ZN2at6native12_GLOBAL__N_137upsample_bicubic2d_out_frame_parallelIN3c104HalfEfEEviT0_S5_bN5torch10headeronly6detail27GenericPackedTensorAccessorINS8_14TensorAccessorINS3_8ArrayRefIlEEKT_Lm3ENS7_16DefaultPtrTraitsElEENS_6detail16IndexBoundsCheckILm4ElEESE_Lm4ESF_lEENS9_INSA_ISC_SD_Lm3ESF_lEESJ_SD_Lm4ESF_lEE
		.amdhsa_group_segment_fixed_size 0
		.amdhsa_private_segment_fixed_size 0
		.amdhsa_kernarg_size 416
		.amdhsa_user_sgpr_count 6
		.amdhsa_user_sgpr_private_segment_buffer 1
		.amdhsa_user_sgpr_dispatch_ptr 0
		.amdhsa_user_sgpr_queue_ptr 0
		.amdhsa_user_sgpr_kernarg_segment_ptr 1
		.amdhsa_user_sgpr_dispatch_id 0
		.amdhsa_user_sgpr_flat_scratch_init 0
		.amdhsa_user_sgpr_kernarg_preload_length 0
		.amdhsa_user_sgpr_kernarg_preload_offset 0
		.amdhsa_user_sgpr_private_segment_size 0
		.amdhsa_uses_dynamic_stack 0
		.amdhsa_system_sgpr_private_segment_wavefront_offset 0
		.amdhsa_system_sgpr_workgroup_id_x 1
		.amdhsa_system_sgpr_workgroup_id_y 0
		.amdhsa_system_sgpr_workgroup_id_z 1
		.amdhsa_system_sgpr_workgroup_info 0
		.amdhsa_system_vgpr_workitem_id 0
		.amdhsa_next_free_vgpr 66
		.amdhsa_next_free_sgpr 56
		.amdhsa_accum_offset 68
		.amdhsa_reserve_vcc 1
		.amdhsa_reserve_flat_scratch 0
		.amdhsa_float_round_mode_32 0
		.amdhsa_float_round_mode_16_64 0
		.amdhsa_float_denorm_mode_32 3
		.amdhsa_float_denorm_mode_16_64 3
		.amdhsa_dx10_clamp 1
		.amdhsa_ieee_mode 1
		.amdhsa_fp16_overflow 0
		.amdhsa_tg_split 0
		.amdhsa_exception_fp_ieee_invalid_op 0
		.amdhsa_exception_fp_denorm_src 0
		.amdhsa_exception_fp_ieee_div_zero 0
		.amdhsa_exception_fp_ieee_overflow 0
		.amdhsa_exception_fp_ieee_underflow 0
		.amdhsa_exception_fp_ieee_inexact 0
		.amdhsa_exception_int_div_zero 0
	.end_amdhsa_kernel
	.section	.text._ZN2at6native12_GLOBAL__N_137upsample_bicubic2d_out_frame_parallelIN3c104HalfEfEEviT0_S5_bN5torch10headeronly6detail27GenericPackedTensorAccessorINS8_14TensorAccessorINS3_8ArrayRefIlEEKT_Lm3ENS7_16DefaultPtrTraitsElEENS_6detail16IndexBoundsCheckILm4ElEESE_Lm4ESF_lEENS9_INSA_ISC_SD_Lm3ESF_lEESJ_SD_Lm4ESF_lEE,"axG",@progbits,_ZN2at6native12_GLOBAL__N_137upsample_bicubic2d_out_frame_parallelIN3c104HalfEfEEviT0_S5_bN5torch10headeronly6detail27GenericPackedTensorAccessorINS8_14TensorAccessorINS3_8ArrayRefIlEEKT_Lm3ENS7_16DefaultPtrTraitsElEENS_6detail16IndexBoundsCheckILm4ElEESE_Lm4ESF_lEENS9_INSA_ISC_SD_Lm3ESF_lEESJ_SD_Lm4ESF_lEE,comdat
.Lfunc_end4:
	.size	_ZN2at6native12_GLOBAL__N_137upsample_bicubic2d_out_frame_parallelIN3c104HalfEfEEviT0_S5_bN5torch10headeronly6detail27GenericPackedTensorAccessorINS8_14TensorAccessorINS3_8ArrayRefIlEEKT_Lm3ENS7_16DefaultPtrTraitsElEENS_6detail16IndexBoundsCheckILm4ElEESE_Lm4ESF_lEENS9_INSA_ISC_SD_Lm3ESF_lEESJ_SD_Lm4ESF_lEE, .Lfunc_end4-_ZN2at6native12_GLOBAL__N_137upsample_bicubic2d_out_frame_parallelIN3c104HalfEfEEviT0_S5_bN5torch10headeronly6detail27GenericPackedTensorAccessorINS8_14TensorAccessorINS3_8ArrayRefIlEEKT_Lm3ENS7_16DefaultPtrTraitsElEENS_6detail16IndexBoundsCheckILm4ElEESE_Lm4ESF_lEENS9_INSA_ISC_SD_Lm3ESF_lEESJ_SD_Lm4ESF_lEE
                                        ; -- End function
	.section	.AMDGPU.csdata,"",@progbits
; Kernel info:
; codeLenInByte = 2708
; NumSgprs: 60
; NumVgprs: 66
; NumAgprs: 0
; TotalNumVgprs: 66
; ScratchSize: 0
; MemoryBound: 0
; FloatMode: 240
; IeeeMode: 1
; LDSByteSize: 0 bytes/workgroup (compile time only)
; SGPRBlocks: 7
; VGPRBlocks: 8
; NumSGPRsForWavesPerEU: 60
; NumVGPRsForWavesPerEU: 66
; AccumOffset: 68
; Occupancy: 7
; WaveLimiterHint : 1
; COMPUTE_PGM_RSRC2:SCRATCH_EN: 0
; COMPUTE_PGM_RSRC2:USER_SGPR: 6
; COMPUTE_PGM_RSRC2:TRAP_HANDLER: 0
; COMPUTE_PGM_RSRC2:TGID_X_EN: 1
; COMPUTE_PGM_RSRC2:TGID_Y_EN: 0
; COMPUTE_PGM_RSRC2:TGID_Z_EN: 1
; COMPUTE_PGM_RSRC2:TIDIG_COMP_CNT: 0
; COMPUTE_PGM_RSRC3_GFX90A:ACCUM_OFFSET: 16
; COMPUTE_PGM_RSRC3_GFX90A:TG_SPLIT: 0
	.section	.text._ZN2at6native12_GLOBAL__N_128upsample_bicubic2d_out_frameIN3c104HalfEfEEviT0_S5_bN5torch10headeronly6detail27GenericPackedTensorAccessorINS8_14TensorAccessorINS3_8ArrayRefIlEEKT_Lm3ENS7_16DefaultPtrTraitsElEENS_6detail16IndexBoundsCheckILm4ElEESE_Lm4ESF_lEENS9_INSA_ISC_SD_Lm3ESF_lEESJ_SD_Lm4ESF_lEE,"axG",@progbits,_ZN2at6native12_GLOBAL__N_128upsample_bicubic2d_out_frameIN3c104HalfEfEEviT0_S5_bN5torch10headeronly6detail27GenericPackedTensorAccessorINS8_14TensorAccessorINS3_8ArrayRefIlEEKT_Lm3ENS7_16DefaultPtrTraitsElEENS_6detail16IndexBoundsCheckILm4ElEESE_Lm4ESF_lEENS9_INSA_ISC_SD_Lm3ESF_lEESJ_SD_Lm4ESF_lEE,comdat
	.globl	_ZN2at6native12_GLOBAL__N_128upsample_bicubic2d_out_frameIN3c104HalfEfEEviT0_S5_bN5torch10headeronly6detail27GenericPackedTensorAccessorINS8_14TensorAccessorINS3_8ArrayRefIlEEKT_Lm3ENS7_16DefaultPtrTraitsElEENS_6detail16IndexBoundsCheckILm4ElEESE_Lm4ESF_lEENS9_INSA_ISC_SD_Lm3ESF_lEESJ_SD_Lm4ESF_lEE ; -- Begin function _ZN2at6native12_GLOBAL__N_128upsample_bicubic2d_out_frameIN3c104HalfEfEEviT0_S5_bN5torch10headeronly6detail27GenericPackedTensorAccessorINS8_14TensorAccessorINS3_8ArrayRefIlEEKT_Lm3ENS7_16DefaultPtrTraitsElEENS_6detail16IndexBoundsCheckILm4ElEESE_Lm4ESF_lEENS9_INSA_ISC_SD_Lm3ESF_lEESJ_SD_Lm4ESF_lEE
	.p2align	8
	.type	_ZN2at6native12_GLOBAL__N_128upsample_bicubic2d_out_frameIN3c104HalfEfEEviT0_S5_bN5torch10headeronly6detail27GenericPackedTensorAccessorINS8_14TensorAccessorINS3_8ArrayRefIlEEKT_Lm3ENS7_16DefaultPtrTraitsElEENS_6detail16IndexBoundsCheckILm4ElEESE_Lm4ESF_lEENS9_INSA_ISC_SD_Lm3ESF_lEESJ_SD_Lm4ESF_lEE,@function
_ZN2at6native12_GLOBAL__N_128upsample_bicubic2d_out_frameIN3c104HalfEfEEviT0_S5_bN5torch10headeronly6detail27GenericPackedTensorAccessorINS8_14TensorAccessorINS3_8ArrayRefIlEEKT_Lm3ENS7_16DefaultPtrTraitsElEENS_6detail16IndexBoundsCheckILm4ElEESE_Lm4ESF_lEENS9_INSA_ISC_SD_Lm3ESF_lEESJ_SD_Lm4ESF_lEE: ; @_ZN2at6native12_GLOBAL__N_128upsample_bicubic2d_out_frameIN3c104HalfEfEEviT0_S5_bN5torch10headeronly6detail27GenericPackedTensorAccessorINS8_14TensorAccessorINS3_8ArrayRefIlEEKT_Lm3ENS7_16DefaultPtrTraitsElEENS_6detail16IndexBoundsCheckILm4ElEESE_Lm4ESF_lEENS9_INSA_ISC_SD_Lm3ESF_lEESJ_SD_Lm4ESF_lEE
; %bb.0:
	s_load_dword s7, s[4:5], 0xac
	s_load_dwordx4 s[0:3], s[4:5], 0x0
	s_waitcnt lgkmcnt(0)
	s_and_b32 s7, s7, 0xffff
	s_mul_i32 s6, s6, s7
	v_add_u32_e32 v0, s6, v0
	v_cmp_gt_i32_e32 vcc, s0, v0
	s_and_saveexec_b64 s[6:7], vcc
	s_cbranch_execz .LBB5_14
; %bb.1:
	s_load_dwordx4 s[8:11], s[4:5], 0x70
	v_sub_u32_e32 v2, 0, v0
	v_max_i32_e32 v2, v0, v2
	s_load_dwordx8 s[36:43], s[4:5], 0x18
	s_waitcnt lgkmcnt(0)
	s_abs_i32 s0, s10
	v_cvt_f32_u32_e32 v1, s0
	s_sub_i32 s9, 0, s0
	v_xor_b32_e32 v3, s10, v0
	s_cmp_lg_u32 s40, s8
	v_rcp_iflag_f32_e32 v1, v1
	v_ashrrev_i32_e32 v3, 31, v3
	s_cselect_b64 s[6:7], -1, 0
	s_cmp_lg_u32 s42, s10
	v_mul_f32_e32 v1, 0x4f7ffffe, v1
	v_cvt_u32_f32_e32 v1, v1
	v_mul_lo_u32 v4, s9, v1
	v_mul_hi_u32 v4, v1, v4
	v_add_u32_e32 v1, v1, v4
	v_mul_hi_u32 v1, v2, v1
	v_mul_lo_u32 v4, v1, s0
	v_sub_u32_e32 v2, v2, v4
	v_add_u32_e32 v5, 1, v1
	v_cmp_le_u32_e32 vcc, s0, v2
	v_subrev_u32_e32 v4, s0, v2
	v_cndmask_b32_e32 v1, v1, v5, vcc
	v_cndmask_b32_e32 v2, v2, v4, vcc
	v_add_u32_e32 v4, 1, v1
	v_cmp_le_u32_e32 vcc, s0, v2
	v_cndmask_b32_e32 v1, v1, v4, vcc
	v_xor_b32_e32 v1, v1, v3
	s_cselect_b64 s[8:9], -1, 0
	v_sub_u32_e32 v5, v1, v3
	s_or_b64 s[8:9], s[8:9], s[6:7]
	v_mul_lo_u32 v1, v5, s10
	s_cmp_gt_i32 s36, 0
	v_sub_u32_e32 v4, v0, v1
	s_mov_b64 s[6:7], -1
	s_cselect_b64 s[34:35], -1, 0
	s_and_b64 vcc, exec, s[8:9]
	s_cbranch_vccz .LBB5_8
; %bb.2:
	s_andn2_b64 vcc, exec, s[34:35]
	s_cbranch_vccnz .LBB5_7
; %bb.3:
	v_cvt_f32_i32_e32 v0, v5
	v_cvt_f32_i32_e32 v1, v4
	s_bitcmp1_b32 s3, 0
	s_cselect_b64 vcc, -1, 0
	v_mul_f32_e32 v2, s1, v0
	v_add_f32_e32 v0, 0.5, v0
	v_fma_f32 v0, v0, s1, -0.5
	v_cndmask_b32_e32 v0, v0, v2, vcc
	v_mul_f32_e32 v3, s2, v1
	v_add_f32_e32 v1, 0.5, v1
	v_floor_f32_e32 v2, v0
	v_fma_f32 v1, v1, s2, -0.5
	v_cvt_i32_f32_e32 v2, v2
	v_cndmask_b32_e32 v1, v1, v3, vcc
	v_floor_f32_e32 v3, v1
	v_cvt_i32_f32_e32 v3, v3
	v_cvt_f32_i32_e32 v6, v2
	s_cmp_gt_i32 s38, 0
	s_cselect_b64 s[44:45], -1, 0
	v_cvt_f32_i32_e32 v7, v3
	v_sub_f32_e32 v0, v0, v6
	v_add_u32_e32 v6, -1, v3
	s_add_i32 s2, s42, -1
	v_min_i32_e32 v6, s2, v6
	v_sub_f32_e32 v1, v1, v7
	v_max_i32_e32 v17, 0, v6
	v_min_i32_e32 v6, s2, v3
	v_mov_b32_e32 v8, 0xc0100000
	v_max_i32_e32 v19, 0, v6
	v_add_u32_e32 v6, 1, v3
	v_add_u32_e32 v3, 2, v3
	v_fmac_f32_e32 v8, 0x3fa00000, v1
	v_min_i32_e32 v3, s2, v3
	v_mul_f32_e32 v8, v1, v8
	v_max_i32_e32 v23, 0, v3
	v_add_f32_e32 v3, 1.0, v1
	v_fma_f32 v8, v1, v8, 1.0
	v_sub_f32_e32 v1, 1.0, v1
	v_mov_b32_e32 v9, 0xc0100000
	v_fmac_f32_e32 v9, 0x3fa00000, v1
	v_min_i32_e32 v6, s2, v6
	v_mul_f32_e32 v9, v1, v9
	v_max_i32_e32 v21, 0, v6
	v_mov_b32_e32 v6, 0x40700000
	v_fma_f32 v9, v1, v9, 1.0
	v_add_f32_e32 v1, 1.0, v1
	v_mov_b32_e32 v10, 0x40700000
	v_fmac_f32_e32 v6, 0xbf400000, v3
	v_mov_b32_e32 v16, 0xc0c00000
	v_fmac_f32_e32 v10, 0xbf400000, v1
	v_fma_f32 v7, v3, v6, v16
	v_mov_b32_e32 v6, 0x40400000
	v_fma_f32 v10, v1, v10, v16
	v_fma_f32 v10, v1, v10, v6
	v_add_f32_e32 v1, 1.0, v0
	v_mov_b32_e32 v11, 0x40700000
	v_fmac_f32_e32 v11, 0xbf400000, v1
	v_fma_f32 v11, v1, v11, v16
	v_fma_f32 v11, v1, v11, v6
	v_mov_b32_e32 v1, 0xc0100000
	v_fmac_f32_e32 v1, 0x3fa00000, v0
	v_mul_f32_e32 v1, v0, v1
	v_fma_f32 v7, v3, v7, v6
	v_mov_b32_e32 v3, 0xc0100000
	v_fma_f32 v12, v0, v1, 1.0
	v_sub_f32_e32 v0, 1.0, v0
	v_fmac_f32_e32 v3, 0x3fa00000, v0
	v_mul_f32_e32 v1, v0, v3
	s_load_dwordx8 s[16:23], s[4:5], 0x80
	v_mov_b32_e32 v15, 0x40700000
	v_fma_f32 v13, v0, v1, 1.0
	v_add_f32_e32 v0, 1.0, v0
	v_fmac_f32_e32 v15, 0xbf400000, v0
	s_add_i32 s6, s40, -1
	s_load_dwordx2 s[40:41], s[4:5], 0x10
	s_load_dwordx8 s[8:15], s[4:5], 0x38
	s_load_dwordx2 s[0:1], s[4:5], 0x58
	v_fmac_f32_e32 v16, v0, v15
	v_fmac_f32_e32 v6, v0, v16
	v_ashrrev_i32_e32 v0, 31, v5
	s_waitcnt lgkmcnt(0)
	v_mul_lo_u32 v3, s21, v5
	v_mul_lo_u32 v15, s20, v0
	v_mad_u64_u32 v[0:1], s[2:3], s20, v5, 0
	v_add3_u32 v1, v1, v15, v3
	v_lshlrev_b64 v[0:1], 1, v[0:1]
	v_mov_b32_e32 v3, s1
	v_add_co_u32_e32 v15, vcc, s0, v0
	v_ashrrev_i32_e32 v0, 31, v4
	v_addc_co_u32_e32 v3, vcc, v3, v1, vcc
	v_mul_lo_u32 v16, s23, v4
	v_mul_lo_u32 v18, s22, v0
	v_mad_u64_u32 v[0:1], s[0:1], s22, v4, 0
	v_add3_u32 v1, v1, v18, v16
	v_lshlrev_b64 v[0:1], 1, v[0:1]
	v_add_u32_e32 v14, -1, v2
	v_add_co_u32_e32 v0, vcc, v15, v0
	v_addc_co_u32_e32 v1, vcc, v3, v1, vcc
	v_min_i32_e32 v3, s6, v14
	v_max_i32_e32 v15, 0, v3
	v_min_i32_e32 v3, s6, v2
	v_max_i32_e32 v24, 0, v3
	v_add_u32_e32 v3, 1, v2
	v_add_u32_e32 v2, 2, v2
	v_min_i32_e32 v3, s6, v3
	v_min_i32_e32 v2, s6, v2
	v_max_i32_e32 v31, 0, v3
	v_max_i32_e32 v47, 0, v2
	v_mad_u64_u32 v[2:3], s[0:1], s12, v15, 0
	v_mov_b32_e32 v14, v3
	v_mad_u64_u32 v[14:15], s[0:1], s13, v15, v[14:15]
	v_mov_b32_e32 v3, v14
	;; [unrolled: 2-line block ×6, first 2 shown]
	v_mad_u64_u32 v[18:19], s[0:1], s14, v21, 0
	v_lshlrev_b64 v[2:3], 1, v[2:3]
	v_lshlrev_b64 v[38:39], 1, v[14:15]
	v_mov_b32_e32 v20, v19
	v_add_co_u32_e32 v14, vcc, v2, v38
	v_mad_u64_u32 v[20:21], s[0:1], s15, v21, v[20:21]
	v_addc_co_u32_e32 v15, vcc, v3, v39, vcc
	v_lshlrev_b64 v[40:41], 1, v[16:17]
	v_mov_b32_e32 v19, v20
	v_mad_u64_u32 v[20:21], s[0:1], s14, v23, 0
	v_add_co_u32_e32 v16, vcc, v40, v2
	v_mov_b32_e32 v22, v21
	v_addc_co_u32_e32 v17, vcc, v41, v3, vcc
	v_lshlrev_b64 v[42:43], 1, v[18:19]
	v_mad_u64_u32 v[22:23], s[0:1], s15, v23, v[22:23]
	v_add_co_u32_e32 v18, vcc, v2, v42
	v_mov_b32_e32 v21, v22
	v_addc_co_u32_e32 v19, vcc, v3, v43, vcc
	v_lshlrev_b64 v[44:45], 1, v[20:21]
	v_add_co_u32_e32 v20, vcc, v2, v44
	v_addc_co_u32_e32 v21, vcc, v3, v45, vcc
	v_mad_u64_u32 v[2:3], s[0:1], s12, v24, 0
	v_mov_b32_e32 v22, v3
	v_mad_u64_u32 v[22:23], s[0:1], s13, v24, v[22:23]
	v_mov_b32_e32 v3, v22
	v_lshlrev_b64 v[2:3], 1, v[2:3]
	v_add_co_u32_e32 v22, vcc, v2, v38
	v_addc_co_u32_e32 v23, vcc, v3, v39, vcc
	v_add_co_u32_e32 v24, vcc, v2, v40
	v_addc_co_u32_e32 v25, vcc, v3, v41, vcc
	v_add_co_u32_e32 v26, vcc, v2, v42
	v_addc_co_u32_e32 v27, vcc, v3, v43, vcc
	v_add_co_u32_e32 v28, vcc, v2, v44
	v_addc_co_u32_e32 v29, vcc, v3, v45, vcc
	v_mad_u64_u32 v[2:3], s[0:1], s12, v31, 0
	v_mov_b32_e32 v30, v3
	v_mad_u64_u32 v[30:31], s[0:1], s13, v31, v[30:31]
	v_mov_b32_e32 v3, v30
	v_lshlrev_b64 v[2:3], 1, v[2:3]
	v_add_co_u32_e32 v30, vcc, v38, v2
	v_addc_co_u32_e32 v31, vcc, v39, v3, vcc
	v_add_co_u32_e32 v32, vcc, v40, v2
	v_addc_co_u32_e32 v33, vcc, v41, v3, vcc
	v_add_co_u32_e32 v34, vcc, v2, v42
	v_addc_co_u32_e32 v35, vcc, v3, v43, vcc
	;; [unrolled: 13-line block ×3, first 2 shown]
	v_add_co_u32_e32 v44, vcc, v2, v44
	s_mov_b32 s33, 0
	s_lshl_b64 s[42:43], s[16:17], 1
	s_lshl_b64 s[46:47], s[18:19], 1
	;; [unrolled: 1-line block ×4, first 2 shown]
	v_addc_co_u32_e32 v45, vcc, v3, v45, vcc
	s_branch .LBB5_5
.LBB5_4:                                ;   in Loop: Header=BB5_5 Depth=1
	s_add_i32 s33, s33, 1
	s_add_u32 s40, s40, s48
	v_mov_b32_e32 v2, s43
	s_addc_u32 s41, s41, s49
	v_add_co_u32_e32 v0, vcc, s42, v0
	s_cmp_lg_u32 s33, s36
	v_addc_co_u32_e32 v1, vcc, v1, v2, vcc
	s_cbranch_scc0 .LBB5_7
.LBB5_5:                                ; =>This Loop Header: Depth=1
                                        ;     Child Loop BB5_6 Depth 2
	s_andn2_b64 vcc, exec, s[44:45]
	s_mov_b64 s[52:53], s[40:41]
	v_pk_mov_b32 v[2:3], v[0:1], v[0:1] op_sel:[0,1]
	s_mov_b32 s37, s38
	s_cbranch_vccnz .LBB5_4
.LBB5_6:                                ;   Parent Loop BB5_5 Depth=1
                                        ; =>  This Inner Loop Header: Depth=2
	v_mov_b32_e32 v75, s53
	v_add_co_u32_e32 v46, vcc, s52, v16
	v_add_co_u32_e64 v48, s[0:1], s52, v18
	v_add_co_u32_e64 v50, s[2:3], s52, v20
	;; [unrolled: 1-line block ×15, first 2 shown]
	v_addc_co_u32_e32 v47, vcc, v75, v17, vcc
	v_addc_co_u32_e64 v49, vcc, v75, v19, s[0:1]
	v_addc_co_u32_e64 v51, vcc, v75, v21, s[2:3]
	;; [unrolled: 1-line block ×7, first 2 shown]
	v_addc_co_u32_e64 v77, s[30:31], v75, v15, s[30:31]
	v_addc_co_u32_e64 v61, vcc, v75, v31, s[14:15]
	v_addc_co_u32_e64 v65, vcc, v75, v35, s[18:19]
	v_addc_co_u32_e64 v67, vcc, v75, v37, s[20:21]
	v_addc_co_u32_e64 v69, vcc, v75, v39, s[22:23]
	v_addc_co_u32_e64 v71, vcc, v75, v41, s[24:25]
	v_addc_co_u32_e64 v73, vcc, v75, v43, s[26:27]
	v_addc_co_u32_e64 v75, vcc, v75, v45, s[28:29]
	global_load_ushort v62, v[62:63], off
	s_nop 0
	global_load_ushort v63, v[70:71], off
	s_nop 0
	;; [unrolled: 2-line block ×4, first 2 shown]
	global_load_ushort v48, v[54:55], off
	global_load_ushort v49, v[56:57], off
	s_nop 0
	global_load_ushort v54, v[58:59], off
	s_nop 0
	;; [unrolled: 2-line block ×4, first 2 shown]
	global_load_ushort v51, v[76:77], off
	global_load_ushort v53, v[64:65], off
	;; [unrolled: 1-line block ×7, first 2 shown]
	s_add_i32 s37, s37, -1
	s_add_u32 s52, s52, s50
	v_mov_b32_e32 v60, s47
	s_addc_u32 s53, s53, s51
	s_cmp_lg_u32 s37, 0
	s_waitcnt vmcnt(15)
	v_cvt_f32_f16_e32 v61, v62
	s_waitcnt vmcnt(14)
	v_cvt_f32_f16_e32 v62, v63
	;; [unrolled: 2-line block ×4, first 2 shown]
	v_mul_f32_e32 v61, v8, v61
	v_mul_f32_e32 v46, v8, v46
	;; [unrolled: 1-line block ×4, first 2 shown]
	s_waitcnt vmcnt(6)
	v_fma_mix_f32 v46, v7, v51, v46 op_sel_hi:[0,1,0]
	v_fma_mix_f32 v48, v7, v52, v48 op_sel_hi:[0,1,0]
	v_fma_mix_f32 v46, v9, v47, v46 op_sel_hi:[0,1,0]
	s_waitcnt vmcnt(3)
	v_fma_mix_f32 v51, v7, v56, v61 op_sel_hi:[0,1,0]
	v_fma_mix_f32 v47, v9, v49, v48 op_sel_hi:[0,1,0]
	v_fma_mix_f32 v46, v10, v50, v46 op_sel_hi:[0,1,0]
	;; [unrolled: 4-line block ×3, first 2 shown]
	v_mul_f32_e32 v46, v11, v46
	v_fma_mix_f32 v49, v9, v57, v52 op_sel_hi:[0,1,0]
	v_fma_mix_f32 v48, v10, v55, v48 op_sel_hi:[0,1,0]
	v_fmac_f32_e32 v46, v12, v47
	v_fma_mix_f32 v49, v10, v58, v49 op_sel_hi:[0,1,0]
	v_fmac_f32_e32 v46, v13, v48
	v_fma_mixlo_f16 v46, v6, v49, v46
	global_store_short v[2:3], v46, off
	v_add_co_u32_e32 v2, vcc, s46, v2
	v_addc_co_u32_e32 v3, vcc, v3, v60, vcc
	s_cbranch_scc1 .LBB5_6
	s_branch .LBB5_4
.LBB5_7:
	s_mov_b64 s[6:7], 0
.LBB5_8:
	s_andn2_b64 vcc, exec, s[6:7]
	s_cbranch_vccnz .LBB5_14
; %bb.9:
	s_andn2_b64 vcc, exec, s[34:35]
	s_cbranch_vccnz .LBB5_14
; %bb.10:
	s_load_dwordx8 s[8:15], s[4:5], 0x38
	s_load_dwordx2 s[0:1], s[4:5], 0x10
	s_load_dwordx2 s[2:3], s[4:5], 0x58
	v_ashrrev_i32_e32 v2, 31, v5
	v_ashrrev_i32_e32 v7, 31, v4
	s_load_dwordx8 s[20:27], s[4:5], 0x80
	s_waitcnt lgkmcnt(0)
	v_mul_lo_u32 v3, s13, v5
	v_mul_lo_u32 v6, s12, v2
	v_mad_u64_u32 v[0:1], s[6:7], s12, v5, 0
	v_add3_u32 v1, v1, v6, v3
	v_lshlrev_b64 v[0:1], 1, v[0:1]
	v_mov_b32_e32 v3, s1
	v_add_co_u32_e32 v6, vcc, s0, v0
	v_addc_co_u32_e32 v3, vcc, v3, v1, vcc
	v_mul_lo_u32 v8, s15, v4
	v_mul_lo_u32 v9, s14, v7
	v_mad_u64_u32 v[0:1], s[0:1], s14, v4, 0
	v_add3_u32 v1, v1, v9, v8
	v_lshlrev_b64 v[0:1], 1, v[0:1]
	v_add_co_u32_e32 v0, vcc, v6, v0
	v_addc_co_u32_e32 v1, vcc, v3, v1, vcc
	v_mul_lo_u32 v6, s25, v5
	v_mul_lo_u32 v8, s24, v2
	v_mad_u64_u32 v[2:3], s[0:1], s24, v5, 0
	v_add3_u32 v3, v3, v8, v6
	v_lshlrev_b64 v[2:3], 1, v[2:3]
	v_mov_b32_e32 v5, s3
	v_add_co_u32_e32 v6, vcc, s2, v2
	v_addc_co_u32_e32 v5, vcc, v5, v3, vcc
	v_mul_lo_u32 v8, s27, v4
	v_mul_lo_u32 v7, s26, v7
	v_mad_u64_u32 v[2:3], s[0:1], s26, v4, 0
	s_cmp_gt_i32 s38, 0
	v_add3_u32 v3, v3, v7, v8
	v_lshlrev_b64 v[2:3], 1, v[2:3]
	s_cselect_b64 s[0:1], -1, 0
	v_add_co_u32_e32 v2, vcc, v6, v2
	s_lshl_b64 s[2:3], s[20:21], 1
	s_lshl_b64 s[6:7], s[8:9], 1
	v_cndmask_b32_e64 v4, 0, 1, s[0:1]
	s_mov_b32 s16, 0
	v_addc_co_u32_e32 v3, vcc, v5, v3, vcc
	s_lshl_b64 s[4:5], s[22:23], 1
	s_lshl_b64 s[8:9], s[10:11], 1
	v_cmp_ne_u32_e64 s[0:1], 1, v4
	v_mov_b32_e32 v8, s3
	v_mov_b32_e32 v9, s7
	s_branch .LBB5_12
.LBB5_11:                               ;   in Loop: Header=BB5_12 Depth=1
	v_add_co_u32_e32 v2, vcc, s2, v2
	v_addc_co_u32_e32 v3, vcc, v3, v8, vcc
	s_add_i32 s16, s16, 1
	v_add_co_u32_e32 v0, vcc, s6, v0
	s_cmp_eq_u32 s16, s36
	v_addc_co_u32_e32 v1, vcc, v1, v9, vcc
	s_cbranch_scc1 .LBB5_14
.LBB5_12:                               ; =>This Loop Header: Depth=1
                                        ;     Child Loop BB5_13 Depth 2
	s_and_b64 vcc, exec, s[0:1]
	v_pk_mov_b32 v[4:5], v[0:1], v[0:1] op_sel:[0,1]
	v_pk_mov_b32 v[6:7], v[2:3], v[2:3] op_sel:[0,1]
	s_mov_b32 s3, s38
	s_cbranch_vccnz .LBB5_11
.LBB5_13:                               ;   Parent Loop BB5_12 Depth=1
                                        ; =>  This Inner Loop Header: Depth=2
	global_load_ushort v10, v[4:5], off
	v_mov_b32_e32 v12, s9
	v_add_co_u32_e32 v4, vcc, s8, v4
	v_addc_co_u32_e32 v5, vcc, v5, v12, vcc
	s_add_i32 s3, s3, -1
	v_mov_b32_e32 v11, s5
	s_cmp_eq_u32 s3, 0
	s_waitcnt vmcnt(0)
	global_store_short v[6:7], v10, off
	v_add_co_u32_e32 v6, vcc, s4, v6
	v_addc_co_u32_e32 v7, vcc, v7, v11, vcc
	s_cbranch_scc0 .LBB5_13
	s_branch .LBB5_11
.LBB5_14:
	s_endpgm
	.section	.rodata,"a",@progbits
	.p2align	6, 0x0
	.amdhsa_kernel _ZN2at6native12_GLOBAL__N_128upsample_bicubic2d_out_frameIN3c104HalfEfEEviT0_S5_bN5torch10headeronly6detail27GenericPackedTensorAccessorINS8_14TensorAccessorINS3_8ArrayRefIlEEKT_Lm3ENS7_16DefaultPtrTraitsElEENS_6detail16IndexBoundsCheckILm4ElEESE_Lm4ESF_lEENS9_INSA_ISC_SD_Lm3ESF_lEESJ_SD_Lm4ESF_lEE
		.amdhsa_group_segment_fixed_size 0
		.amdhsa_private_segment_fixed_size 0
		.amdhsa_kernarg_size 416
		.amdhsa_user_sgpr_count 6
		.amdhsa_user_sgpr_private_segment_buffer 1
		.amdhsa_user_sgpr_dispatch_ptr 0
		.amdhsa_user_sgpr_queue_ptr 0
		.amdhsa_user_sgpr_kernarg_segment_ptr 1
		.amdhsa_user_sgpr_dispatch_id 0
		.amdhsa_user_sgpr_flat_scratch_init 0
		.amdhsa_user_sgpr_kernarg_preload_length 0
		.amdhsa_user_sgpr_kernarg_preload_offset 0
		.amdhsa_user_sgpr_private_segment_size 0
		.amdhsa_uses_dynamic_stack 0
		.amdhsa_system_sgpr_private_segment_wavefront_offset 0
		.amdhsa_system_sgpr_workgroup_id_x 1
		.amdhsa_system_sgpr_workgroup_id_y 0
		.amdhsa_system_sgpr_workgroup_id_z 0
		.amdhsa_system_sgpr_workgroup_info 0
		.amdhsa_system_vgpr_workitem_id 0
		.amdhsa_next_free_vgpr 78
		.amdhsa_next_free_sgpr 54
		.amdhsa_accum_offset 80
		.amdhsa_reserve_vcc 1
		.amdhsa_reserve_flat_scratch 0
		.amdhsa_float_round_mode_32 0
		.amdhsa_float_round_mode_16_64 0
		.amdhsa_float_denorm_mode_32 3
		.amdhsa_float_denorm_mode_16_64 3
		.amdhsa_dx10_clamp 1
		.amdhsa_ieee_mode 1
		.amdhsa_fp16_overflow 0
		.amdhsa_tg_split 0
		.amdhsa_exception_fp_ieee_invalid_op 0
		.amdhsa_exception_fp_denorm_src 0
		.amdhsa_exception_fp_ieee_div_zero 0
		.amdhsa_exception_fp_ieee_overflow 0
		.amdhsa_exception_fp_ieee_underflow 0
		.amdhsa_exception_fp_ieee_inexact 0
		.amdhsa_exception_int_div_zero 0
	.end_amdhsa_kernel
	.section	.text._ZN2at6native12_GLOBAL__N_128upsample_bicubic2d_out_frameIN3c104HalfEfEEviT0_S5_bN5torch10headeronly6detail27GenericPackedTensorAccessorINS8_14TensorAccessorINS3_8ArrayRefIlEEKT_Lm3ENS7_16DefaultPtrTraitsElEENS_6detail16IndexBoundsCheckILm4ElEESE_Lm4ESF_lEENS9_INSA_ISC_SD_Lm3ESF_lEESJ_SD_Lm4ESF_lEE,"axG",@progbits,_ZN2at6native12_GLOBAL__N_128upsample_bicubic2d_out_frameIN3c104HalfEfEEviT0_S5_bN5torch10headeronly6detail27GenericPackedTensorAccessorINS8_14TensorAccessorINS3_8ArrayRefIlEEKT_Lm3ENS7_16DefaultPtrTraitsElEENS_6detail16IndexBoundsCheckILm4ElEESE_Lm4ESF_lEENS9_INSA_ISC_SD_Lm3ESF_lEESJ_SD_Lm4ESF_lEE,comdat
.Lfunc_end5:
	.size	_ZN2at6native12_GLOBAL__N_128upsample_bicubic2d_out_frameIN3c104HalfEfEEviT0_S5_bN5torch10headeronly6detail27GenericPackedTensorAccessorINS8_14TensorAccessorINS3_8ArrayRefIlEEKT_Lm3ENS7_16DefaultPtrTraitsElEENS_6detail16IndexBoundsCheckILm4ElEESE_Lm4ESF_lEENS9_INSA_ISC_SD_Lm3ESF_lEESJ_SD_Lm4ESF_lEE, .Lfunc_end5-_ZN2at6native12_GLOBAL__N_128upsample_bicubic2d_out_frameIN3c104HalfEfEEviT0_S5_bN5torch10headeronly6detail27GenericPackedTensorAccessorINS8_14TensorAccessorINS3_8ArrayRefIlEEKT_Lm3ENS7_16DefaultPtrTraitsElEENS_6detail16IndexBoundsCheckILm4ElEESE_Lm4ESF_lEENS9_INSA_ISC_SD_Lm3ESF_lEESJ_SD_Lm4ESF_lEE
                                        ; -- End function
	.section	.AMDGPU.csdata,"",@progbits
; Kernel info:
; codeLenInByte = 2396
; NumSgprs: 58
; NumVgprs: 78
; NumAgprs: 0
; TotalNumVgprs: 78
; ScratchSize: 0
; MemoryBound: 0
; FloatMode: 240
; IeeeMode: 1
; LDSByteSize: 0 bytes/workgroup (compile time only)
; SGPRBlocks: 7
; VGPRBlocks: 9
; NumSGPRsForWavesPerEU: 58
; NumVGPRsForWavesPerEU: 78
; AccumOffset: 80
; Occupancy: 6
; WaveLimiterHint : 1
; COMPUTE_PGM_RSRC2:SCRATCH_EN: 0
; COMPUTE_PGM_RSRC2:USER_SGPR: 6
; COMPUTE_PGM_RSRC2:TRAP_HANDLER: 0
; COMPUTE_PGM_RSRC2:TGID_X_EN: 1
; COMPUTE_PGM_RSRC2:TGID_Y_EN: 0
; COMPUTE_PGM_RSRC2:TGID_Z_EN: 0
; COMPUTE_PGM_RSRC2:TIDIG_COMP_CNT: 0
; COMPUTE_PGM_RSRC3_GFX90A:ACCUM_OFFSET: 19
; COMPUTE_PGM_RSRC3_GFX90A:TG_SPLIT: 0
	.section	.text._ZN2at6native12_GLOBAL__N_137upsample_bicubic2d_out_frame_parallelIN3c108BFloat16EfEEviT0_S5_bN5torch10headeronly6detail27GenericPackedTensorAccessorINS8_14TensorAccessorINS3_8ArrayRefIlEEKT_Lm3ENS7_16DefaultPtrTraitsElEENS_6detail16IndexBoundsCheckILm4ElEESE_Lm4ESF_lEENS9_INSA_ISC_SD_Lm3ESF_lEESJ_SD_Lm4ESF_lEE,"axG",@progbits,_ZN2at6native12_GLOBAL__N_137upsample_bicubic2d_out_frame_parallelIN3c108BFloat16EfEEviT0_S5_bN5torch10headeronly6detail27GenericPackedTensorAccessorINS8_14TensorAccessorINS3_8ArrayRefIlEEKT_Lm3ENS7_16DefaultPtrTraitsElEENS_6detail16IndexBoundsCheckILm4ElEESE_Lm4ESF_lEENS9_INSA_ISC_SD_Lm3ESF_lEESJ_SD_Lm4ESF_lEE,comdat
	.globl	_ZN2at6native12_GLOBAL__N_137upsample_bicubic2d_out_frame_parallelIN3c108BFloat16EfEEviT0_S5_bN5torch10headeronly6detail27GenericPackedTensorAccessorINS8_14TensorAccessorINS3_8ArrayRefIlEEKT_Lm3ENS7_16DefaultPtrTraitsElEENS_6detail16IndexBoundsCheckILm4ElEESE_Lm4ESF_lEENS9_INSA_ISC_SD_Lm3ESF_lEESJ_SD_Lm4ESF_lEE ; -- Begin function _ZN2at6native12_GLOBAL__N_137upsample_bicubic2d_out_frame_parallelIN3c108BFloat16EfEEviT0_S5_bN5torch10headeronly6detail27GenericPackedTensorAccessorINS8_14TensorAccessorINS3_8ArrayRefIlEEKT_Lm3ENS7_16DefaultPtrTraitsElEENS_6detail16IndexBoundsCheckILm4ElEESE_Lm4ESF_lEENS9_INSA_ISC_SD_Lm3ESF_lEESJ_SD_Lm4ESF_lEE
	.p2align	8
	.type	_ZN2at6native12_GLOBAL__N_137upsample_bicubic2d_out_frame_parallelIN3c108BFloat16EfEEviT0_S5_bN5torch10headeronly6detail27GenericPackedTensorAccessorINS8_14TensorAccessorINS3_8ArrayRefIlEEKT_Lm3ENS7_16DefaultPtrTraitsElEENS_6detail16IndexBoundsCheckILm4ElEESE_Lm4ESF_lEENS9_INSA_ISC_SD_Lm3ESF_lEESJ_SD_Lm4ESF_lEE,@function
_ZN2at6native12_GLOBAL__N_137upsample_bicubic2d_out_frame_parallelIN3c108BFloat16EfEEviT0_S5_bN5torch10headeronly6detail27GenericPackedTensorAccessorINS8_14TensorAccessorINS3_8ArrayRefIlEEKT_Lm3ENS7_16DefaultPtrTraitsElEENS_6detail16IndexBoundsCheckILm4ElEESE_Lm4ESF_lEENS9_INSA_ISC_SD_Lm3ESF_lEESJ_SD_Lm4ESF_lEE: ; @_ZN2at6native12_GLOBAL__N_137upsample_bicubic2d_out_frame_parallelIN3c108BFloat16EfEEviT0_S5_bN5torch10headeronly6detail27GenericPackedTensorAccessorINS8_14TensorAccessorINS3_8ArrayRefIlEEKT_Lm3ENS7_16DefaultPtrTraitsElEENS_6detail16IndexBoundsCheckILm4ElEESE_Lm4ESF_lEENS9_INSA_ISC_SD_Lm3ESF_lEESJ_SD_Lm4ESF_lEE
; %bb.0:
	s_load_dword s0, s[4:5], 0xac
	s_load_dwordx4 s[8:11], s[4:5], 0x0
	s_add_u32 s56, s4, 0xa0
	s_addc_u32 s57, s5, 0
	s_waitcnt lgkmcnt(0)
	s_and_b32 s0, s0, 0xffff
	s_mul_i32 s6, s6, s0
	v_add_u32_e32 v0, s6, v0
	v_cmp_gt_i32_e32 vcc, s8, v0
	s_and_saveexec_b64 s[0:1], vcc
	s_cbranch_execz .LBB6_10
; %bb.1:
	s_load_dwordx4 s[0:3], s[4:5], 0x70
	v_sub_u32_e32 v2, 0, v0
	v_max_i32_e32 v2, v0, v2
	s_load_dword s6, s[4:5], 0x18
	s_load_dwordx4 s[52:55], s[4:5], 0x20
	s_load_dword s8, s[4:5], 0x30
	s_waitcnt lgkmcnt(0)
	s_abs_i32 s1, s2
	v_cvt_f32_u32_e32 v1, s1
	s_sub_i32 s3, 0, s1
	v_xor_b32_e32 v3, s2, v0
	v_ashrrev_i32_e32 v3, 31, v3
	v_rcp_iflag_f32_e32 v1, v1
	s_cmp_lg_u32 s54, s0
	s_mul_i32 s6, s52, s6
	v_mul_f32_e32 v1, 0x4f7ffffe, v1
	v_cvt_u32_f32_e32 v1, v1
	v_mul_lo_u32 v4, s3, v1
	v_mul_hi_u32 v4, v1, v4
	v_add_u32_e32 v1, v1, v4
	v_mul_hi_u32 v1, v2, v1
	v_mul_lo_u32 v4, v1, s1
	v_sub_u32_e32 v2, v2, v4
	v_add_u32_e32 v5, 1, v1
	v_cmp_le_u32_e32 vcc, s1, v2
	v_subrev_u32_e32 v4, s1, v2
	v_cndmask_b32_e32 v1, v1, v5, vcc
	v_cndmask_b32_e32 v2, v2, v4, vcc
	v_add_u32_e32 v4, 1, v1
	v_cmp_le_u32_e32 vcc, s1, v2
	v_cndmask_b32_e32 v1, v1, v4, vcc
	v_xor_b32_e32 v1, v1, v3
	v_sub_u32_e32 v33, v1, v3
	s_cselect_b64 s[0:1], -1, 0
	s_cmp_lg_u32 s8, s2
	v_mul_lo_u32 v1, v33, s2
	s_cselect_b64 s[2:3], -1, 0
	s_or_b64 s[0:1], s[2:3], s[0:1]
	s_cmp_lt_i32 s7, s6
	s_cselect_b64 s[12:13], -1, 0
	v_sub_u32_e32 v32, v0, v1
	v_cndmask_b32_e64 v0, 0, 1, s[12:13]
	s_mov_b64 s[2:3], -1
	s_and_b64 vcc, exec, s[0:1]
	v_cmp_ne_u32_e64 s[0:1], 1, v0
	s_cbranch_vccz .LBB6_6
; %bb.2:
	s_and_b64 vcc, exec, s[0:1]
	s_cbranch_vccnz .LBB6_5
; %bb.3:
	v_cvt_f32_i32_e32 v0, v33
	s_bitcmp1_b32 s11, 0
	v_cvt_f32_i32_e32 v1, v32
	s_cselect_b64 vcc, -1, 0
	v_mul_f32_e32 v2, s9, v0
	v_add_f32_e32 v0, 0.5, v0
	v_fma_f32 v0, v0, s9, -0.5
	v_cndmask_b32_e32 v0, v0, v2, vcc
	v_floor_f32_e32 v2, v0
	v_cvt_i32_f32_e32 v3, v2
	v_mul_f32_e32 v2, s10, v1
	v_add_f32_e32 v1, 0.5, v1
	v_fma_f32 v1, v1, s10, -0.5
	v_cndmask_b32_e32 v1, v1, v2, vcc
	v_floor_f32_e32 v2, v1
	v_cvt_i32_f32_e32 v2, v2
	v_cvt_f32_i32_e32 v4, v3
	s_load_dwordx8 s[36:43], s[4:5], 0x38
	s_add_i32 s8, s8, -1
	v_cvt_f32_i32_e32 v5, v2
	v_sub_f32_e32 v8, v0, v4
	v_add_u32_e32 v0, -1, v2
	v_min_i32_e32 v0, s8, v0
	v_sub_f32_e32 v7, v1, v5
	v_max_i32_e32 v1, 0, v0
	s_waitcnt lgkmcnt(0)
	v_mad_u64_u32 v[14:15], s[2:3], s42, v1, 0
	v_mov_b32_e32 v0, v15
	v_mad_u64_u32 v[0:1], s[2:3], s43, v1, v[0:1]
	v_mov_b32_e32 v15, v0
	v_min_i32_e32 v0, s8, v2
	v_max_i32_e32 v1, 0, v0
	v_mad_u64_u32 v[16:17], s[2:3], s42, v1, 0
	v_mov_b32_e32 v0, v17
	v_mad_u64_u32 v[0:1], s[2:3], s43, v1, v[0:1]
	v_mov_b32_e32 v17, v0
	v_add_u32_e32 v0, 1, v2
	v_min_i32_e32 v0, s8, v0
	v_max_i32_e32 v1, 0, v0
	v_mad_u64_u32 v[18:19], s[2:3], s42, v1, 0
	v_mov_b32_e32 v0, v19
	v_mad_u64_u32 v[0:1], s[2:3], s43, v1, v[0:1]
	v_mov_b32_e32 v19, v0
	v_add_u32_e32 v0, 2, v2
	v_min_i32_e32 v0, s8, v0
	v_max_i32_e32 v1, 0, v0
	v_mad_u64_u32 v[20:21], s[2:3], s42, v1, 0
	v_mov_b32_e32 v0, v21
	v_mad_u64_u32 v[0:1], s[2:3], s43, v1, v[0:1]
	v_mov_b32_e32 v21, v0
	v_add_f32_e32 v10, 1.0, v7
	v_mov_b32_e32 v0, 0x40700000
	v_fmac_f32_e32 v0, 0xbf400000, v10
	v_mov_b32_e32 v13, 0xc0c00000
	v_fma_f32 v6, v10, v0, v13
	v_mov_b32_e32 v0, 0xc0100000
	v_fmac_f32_e32 v0, 0x3fa00000, v7
	v_mul_f32_e32 v11, v7, v0
	v_sub_f32_e32 v2, 1.0, v7
	v_mov_b32_e32 v0, 0xc0100000
	v_fmac_f32_e32 v0, 0x3fa00000, v2
	v_mul_f32_e32 v0, v2, v0
	v_fma_f32 v0, v2, v0, 1.0
	v_add_f32_e32 v4, 1.0, v2
	v_mov_b32_e32 v2, 0x40700000
	v_fmac_f32_e32 v2, 0xbf400000, v4
	v_fma_f32 v5, v4, v2, v13
	v_mov_b32_e32 v2, 0x40400000
	v_fmac_f32_e32 v2, v4, v5
	v_add_f32_e32 v5, 1.0, v8
	v_mov_b32_e32 v4, 0x40700000
	v_fmac_f32_e32 v4, 0xbf400000, v5
	v_fma_f32 v9, v5, v4, v13
	v_mov_b32_e32 v4, 0xc0100000
	s_mov_b32 s2, 1.0
	v_fmac_f32_e32 v4, 0x3fa00000, v8
	s_load_dwordx8 s[44:51], s[4:5], 0x80
	s_mov_b32 s3, 0x40400000
	v_mul_f32_e32 v4, v8, v4
	v_sub_f32_e32 v12, 1.0, v8
	v_mov_b32_e32 v1, 0x40700000
	v_mov_b32_e32 v23, 0xc0100000
	v_pk_fma_f32 v[4:5], v[8:9], v[4:5], s[2:3]
	v_add_f32_e32 v9, 1.0, v12
	v_fmac_f32_e32 v23, 0x3fa00000, v12
	v_fmac_f32_e32 v1, 0xbf400000, v9
	s_mov_b32 s8, s3
	s_mov_b32 s9, s2
	v_mul_f32_e32 v8, v12, v23
	v_fmac_f32_e32 v13, v9, v1
	v_ashrrev_i32_e32 v1, 31, v33
	v_pk_fma_f32 v[6:7], v[6:7], v[10:11], s[8:9]
	v_pk_fma_f32 v[8:9], v[8:9], v[12:13], s[2:3]
	s_waitcnt lgkmcnt(0)
	v_mul_lo_u32 v10, s49, v33
	v_mul_lo_u32 v1, s48, v1
	v_mad_u64_u32 v[28:29], s[2:3], s48, v33, 0
	v_add3_u32 v29, v29, v1, v10
	v_ashrrev_i32_e32 v1, 31, v32
	v_add_u32_e32 v22, -1, v3
	s_add_i32 s10, s54, -1
	v_mul_lo_u32 v10, s51, v32
	v_mul_lo_u32 v1, s50, v1
	v_mad_u64_u32 v[30:31], s[2:3], s50, v32, 0
	v_add3_u32 v31, v31, v1, v10
	v_min_i32_e32 v1, s10, v22
	v_max_i32_e32 v1, 0, v1
	v_mad_u64_u32 v[12:13], s[2:3], s40, v1, 0
	v_mov_b32_e32 v10, v13
	v_mad_u64_u32 v[10:11], s[2:3], s41, v1, v[10:11]
	v_min_i32_e32 v1, s10, v3
	v_max_i32_e32 v1, 0, v1
	v_mad_u64_u32 v[22:23], s[2:3], s40, v1, 0
	v_mov_b32_e32 v13, v10
	v_mov_b32_e32 v10, v23
	v_mad_u64_u32 v[10:11], s[2:3], s41, v1, v[10:11]
	v_add_u32_e32 v1, 1, v3
	v_min_i32_e32 v1, s10, v1
	v_max_i32_e32 v1, 0, v1
	v_mad_u64_u32 v[24:25], s[2:3], s40, v1, 0
	v_mov_b32_e32 v23, v10
	v_mov_b32_e32 v10, v25
	v_mad_u64_u32 v[10:11], s[2:3], s41, v1, v[10:11]
	v_add_u32_e32 v1, 2, v3
	v_min_i32_e32 v1, s10, v1
	v_max_i32_e32 v1, 0, v1
	v_mad_u64_u32 v[26:27], s[2:3], s40, v1, 0
	s_abs_i32 s40, s52
	v_cvt_f32_u32_e32 v3, s40
	v_mov_b32_e32 v25, v10
	v_mov_b32_e32 v10, v27
	v_mad_u64_u32 v[10:11], s[2:3], s41, v1, v[10:11]
	v_rcp_iflag_f32_e32 v11, v3
	s_load_dwordx2 s[54:55], s[4:5], 0x10
	s_load_dwordx2 s[58:59], s[4:5], 0x58
	s_load_dword s33, s[56:57], 0x8
	s_sub_i32 s2, 0, s40
	v_mul_f32_e32 v11, 0x4f7ffffe, v11
	v_cvt_u32_f32_e32 v34, v11
	v_mov_b32_e32 v27, v10
	v_mov_b32_e32 v3, v2
	;; [unrolled: 1-line block ×3, first 2 shown]
	v_readfirstlane_b32 s3, v34
	s_mul_i32 s2, s2, s3
	s_mul_hi_u32 s2, s3, s2
	v_mov_b32_e32 v10, v7
	v_mov_b32_e32 v11, v6
	s_ashr_i32 s41, s52, 31
	s_add_i32 s42, s3, s2
	s_sub_i32 s43, 0, s52
	v_lshlrev_b64 v[12:13], 1, v[12:13]
	v_lshlrev_b64 v[14:15], 1, v[14:15]
	;; [unrolled: 1-line block ×8, first 2 shown]
	s_movk_i32 s48, 0x7fff
	v_lshlrev_b64 v[28:29], 1, v[28:29]
	v_lshlrev_b64 v[30:31], 1, v[30:31]
	v_mov_b32_e32 v34, 0x7fc0
	s_mov_b32 s49, s7
.LBB6_4:                                ; =>This Inner Loop Header: Depth=1
	s_abs_i32 s3, s49
	s_mul_hi_u32 s8, s3, s42
	s_mul_i32 s9, s8, s40
	s_ashr_i32 s2, s49, 31
	s_sub_i32 s3, s3, s9
	s_xor_b32 s2, s2, s41
	s_add_i32 s10, s8, 1
	s_sub_i32 s9, s3, s40
	s_cmp_ge_u32 s3, s40
	s_cselect_b32 s8, s10, s8
	s_cselect_b32 s3, s9, s3
	s_add_i32 s9, s8, 1
	s_cmp_ge_u32 s3, s40
	s_cselect_b32 s3, s9, s8
	s_xor_b32 s3, s3, s2
	s_sub_i32 s51, s3, s2
	s_mul_i32 s3, s43, s51
	s_ashr_i32 s53, s51, 31
	s_mul_hi_u32 s8, s36, s51
	s_add_i32 s50, s49, s3
	s_mul_i32 s3, s36, s53
	s_mul_i32 s9, s37, s51
	s_add_i32 s3, s8, s3
	s_mul_i32 s2, s36, s51
	s_add_i32 s3, s3, s9
	s_lshl_b64 s[2:3], s[2:3], 1
	s_waitcnt lgkmcnt(0)
	s_add_u32 s12, s54, s2
	s_addc_u32 s13, s55, s3
	s_ashr_i32 s60, s50, 31
	s_mul_hi_u32 s10, s38, s50
	s_mul_i32 s2, s38, s60
	s_mul_i32 s11, s39, s50
	s_add_i32 s2, s10, s2
	s_mul_i32 s8, s38, s50
	s_add_i32 s9, s2, s11
	s_lshl_b64 s[2:3], s[8:9], 1
	s_add_u32 s10, s12, s2
	s_addc_u32 s8, s13, s3
	v_mov_b32_e32 v35, s8
	v_add_co_u32_e32 v43, vcc, s10, v22
	v_mov_b32_e32 v37, s8
	v_add_co_u32_e64 v39, s[2:3], s10, v24
	v_mov_b32_e32 v36, s8
	v_mov_b32_e32 v41, s8
	v_add_co_u32_e64 v45, s[8:9], s10, v26
	v_add_co_u32_e64 v47, s[10:11], s10, v12
	v_addc_co_u32_e64 v49, s[10:11], v36, v13, s[10:11]
	v_add_co_u32_e64 v36, s[10:11], v47, v16
	v_add_co_u32_e64 v38, s[12:13], v47, v18
	;; [unrolled: 1-line block ×3, first 2 shown]
	v_addc_co_u32_e64 v55, s[2:3], v37, v25, s[2:3]
	v_addc_co_u32_e32 v35, vcc, v35, v23, vcc
	v_add_co_u32_e64 v48, s[2:3], v39, v14
	v_add_co_u32_e64 v50, s[20:21], v39, v16
	v_add_co_u32_e64 v52, s[22:23], v39, v18
	v_add_co_u32_e64 v54, s[24:25], v39, v20
	v_addc_co_u32_e64 v63, s[8:9], v41, v27, s[8:9]
	v_addc_co_u32_e64 v37, s[10:11], v49, v17, s[10:11]
	;; [unrolled: 1-line block ×4, first 2 shown]
	v_add_co_u32_e32 v42, vcc, v43, v16
	v_add_co_u32_e64 v44, s[16:17], v43, v18
	v_add_co_u32_e64 v46, s[18:19], v43, v20
	;; [unrolled: 1-line block ×8, first 2 shown]
	v_addc_co_u32_e64 v67, s[10:11], v35, v15, s[10:11]
	v_addc_co_u32_e32 v43, vcc, v35, v17, vcc
	v_addc_co_u32_e64 v45, vcc, v35, v19, s[16:17]
	v_addc_co_u32_e64 v47, vcc, v35, v21, s[18:19]
	v_addc_co_u32_e64 v51, vcc, v55, v17, s[20:21]
	v_addc_co_u32_e64 v53, vcc, v55, v19, s[22:23]
	v_addc_co_u32_e64 v65, s[34:35], v49, v15, s[34:35]
	v_addc_co_u32_e64 v49, vcc, v55, v15, s[2:3]
	v_addc_co_u32_e64 v55, vcc, v55, v21, s[24:25]
	v_addc_co_u32_e64 v57, vcc, v63, v15, s[8:9]
	v_addc_co_u32_e64 v59, vcc, v63, v17, s[26:27]
	v_addc_co_u32_e64 v61, vcc, v63, v19, s[28:29]
	v_addc_co_u32_e64 v63, vcc, v63, v21, s[30:31]
	global_load_ushort v35, v[36:37], off
	global_load_ushort v68, v[38:39], off
	s_nop 0
	global_load_ushort v42, v[42:43], off
	s_nop 0
	;; [unrolled: 2-line block ×4, first 2 shown]
	global_load_ushort v38, v[66:67], off
	global_load_ushort v45, v[40:41], off
                                        ; kill: killed $vgpr66 killed $vgpr67
                                        ; kill: killed $vgpr40 killed $vgpr41
	s_nop 0
	global_load_ushort v40, v[64:65], off
	global_load_ushort v66, v[50:51], off
	;; [unrolled: 1-line block ×4, first 2 shown]
                                        ; kill: killed $vgpr50 killed $vgpr51
                                        ; kill: killed $vgpr56 killed $vgpr57
                                        ; kill: killed $vgpr64 killed $vgpr65
                                        ; kill: killed $vgpr52 killed $vgpr53
	s_nop 0
	global_load_ushort v50, v[58:59], off
	global_load_ushort v51, v[60:61], off
	;; [unrolled: 1-line block ×5, first 2 shown]
	s_mul_hi_u32 s3, s44, s51
	s_mul_i32 s10, s44, s53
	s_mul_i32 s9, s45, s51
	s_add_i32 s3, s3, s10
	s_mul_i32 s2, s44, s51
	s_add_i32 s3, s3, s9
	s_lshl_b64 s[2:3], s[2:3], 1
	s_mul_hi_u32 s11, s46, s50
	s_mul_i32 s13, s46, s60
	s_add_u32 s10, s58, s2
	s_mul_i32 s12, s47, s50
	s_addc_u32 s14, s59, s3
	s_add_i32 s2, s11, s13
	s_mul_i32 s8, s46, s50
	s_add_i32 s9, s2, s12
	s_lshl_b64 s[2:3], s[8:9], 1
	s_add_u32 s2, s10, s2
	s_addc_u32 s3, s14, s3
	v_mov_b32_e32 v36, s3
	v_add_co_u32_e32 v37, vcc, s2, v28
	v_addc_co_u32_e32 v39, vcc, v36, v29, vcc
	v_add_co_u32_e32 v36, vcc, v37, v30
	v_addc_co_u32_e32 v37, vcc, v39, v31, vcc
	s_add_i32 s49, s49, s33
	s_cmp_lt_i32 s49, s6
	s_waitcnt vmcnt(15)
	v_lshlrev_b32_e32 v39, 16, v35
	s_waitcnt vmcnt(14)
	v_lshlrev_b32_e32 v43, 16, v68
	;; [unrolled: 2-line block ×3, first 2 shown]
	v_pk_mul_f32 v[38:39], v[6:7], v[38:39]
	s_waitcnt vmcnt(9)
	v_lshlrev_b32_e32 v45, 16, v45
	s_waitcnt vmcnt(8)
	v_lshlrev_b32_e32 v41, 16, v40
	v_lshlrev_b32_e32 v40, 16, v42
	;; [unrolled: 1-line block ×4, first 2 shown]
	s_waitcnt vmcnt(5)
	v_lshlrev_b32_e32 v47, 16, v47
	v_lshlrev_b32_e32 v46, 16, v66
	v_pk_mul_f32 v[46:47], v[10:11], v[46:47]
	v_pk_fma_f32 v[38:39], v[10:11], v[40:41], v[38:39]
	s_waitcnt vmcnt(4)
	v_lshlrev_b32_e32 v49, 16, v50
	s_waitcnt vmcnt(3)
	v_lshlrev_b32_e32 v51, 16, v51
	v_lshlrev_b32_e32 v50, 16, v67
	v_pk_fma_f32 v[38:39], v[0:1], v[42:43], v[38:39]
	s_waitcnt vmcnt(0)
	v_lshlrev_b32_e32 v48, 16, v53
	v_pk_fma_f32 v[40:41], v[6:7], v[48:49], v[46:47]
	v_lshlrev_b32_e32 v53, 16, v52
	v_lshlrev_b32_e32 v52, 16, v56
	v_pk_fma_f32 v[40:41], v[0:1], v[50:51], v[40:41]
	v_pk_fma_f32 v[38:39], v[2:3], v[44:45], v[38:39]
	;; [unrolled: 1-line block ×3, first 2 shown]
	v_pk_mul_f32 v[38:39], v[4:5], v[38:39]
	v_pk_mul_f32 v[40:41], v[8:9], v[40:41]
	v_add_f32_e32 v35, v38, v39
	v_add_f32_e32 v35, v40, v35
	;; [unrolled: 1-line block ×3, first 2 shown]
	v_bfe_u32 v38, v35, 16, 1
	v_add3_u32 v38, v35, v38, s48
	v_lshrrev_b32_e32 v38, 16, v38
	v_cmp_o_f32_e32 vcc, v35, v35
	v_cndmask_b32_e32 v35, v34, v38, vcc
	global_store_short v[36:37], v35, off
	s_cbranch_scc1 .LBB6_4
.LBB6_5:
	s_mov_b64 s[2:3], 0
.LBB6_6:
	s_andn2_b64 vcc, exec, s[2:3]
	s_cbranch_vccnz .LBB6_10
; %bb.7:
	s_and_b64 vcc, exec, s[0:1]
	s_cbranch_vccnz .LBB6_10
; %bb.8:
	s_load_dwordx8 s[8:15], s[4:5], 0x38
	s_load_dwordx2 s[0:1], s[4:5], 0x10
	s_load_dwordx2 s[2:3], s[4:5], 0x58
	s_load_dwordx8 s[16:23], s[4:5], 0x80
	v_ashrrev_i32_e32 v4, 31, v33
	s_waitcnt lgkmcnt(0)
	v_mul_lo_u32 v2, s13, v33
	v_mul_lo_u32 v3, s12, v4
	v_mad_u64_u32 v[0:1], s[12:13], s12, v33, 0
	v_ashrrev_i32_e32 v6, 31, v32
	v_add3_u32 v1, v1, v3, v2
	v_mul_lo_u32 v5, s15, v32
	v_mul_lo_u32 v7, s14, v6
	v_mad_u64_u32 v[2:3], s[4:5], s14, v32, 0
	v_add3_u32 v3, v3, v7, v5
	v_mul_lo_u32 v8, s20, v4
	v_mad_u64_u32 v[4:5], s[4:5], s20, v33, 0
	s_abs_i32 s4, s52
	v_cvt_f32_u32_e32 v9, s4
	v_mul_lo_u32 v7, s21, v33
	v_add3_u32 v5, v5, v8, v7
	v_mul_lo_u32 v8, s23, v32
	v_rcp_iflag_f32_e32 v9, v9
	v_mul_lo_u32 v10, s22, v6
	v_mad_u64_u32 v[6:7], s[12:13], s22, v32, 0
	v_add3_u32 v7, v7, v10, v8
	v_mul_f32_e32 v8, 0x4f7ffffe, v9
	v_cvt_u32_f32_e32 v8, v8
	s_load_dword s5, s[56:57], 0x8
	s_sub_i32 s13, 0, s4
	s_ashr_i32 s12, s52, 31
	v_readfirstlane_b32 s14, v8
	s_mul_i32 s13, s13, s14
	s_mul_hi_u32 s13, s14, s13
	s_add_i32 s13, s14, s13
	s_sub_i32 s14, 0, s52
	v_lshlrev_b64 v[0:1], 1, v[0:1]
	v_lshlrev_b64 v[2:3], 1, v[2:3]
	;; [unrolled: 1-line block ×4, first 2 shown]
.LBB6_9:                                ; =>This Inner Loop Header: Depth=1
	s_abs_i32 s20, s7
	s_mul_hi_u32 s21, s20, s13
	s_mul_i32 s22, s21, s4
	s_ashr_i32 s15, s7, 31
	s_sub_i32 s20, s20, s22
	s_xor_b32 s15, s15, s12
	s_add_i32 s23, s21, 1
	s_sub_i32 s22, s20, s4
	s_cmp_ge_u32 s20, s4
	s_cselect_b32 s21, s23, s21
	s_cselect_b32 s20, s22, s20
	s_add_i32 s22, s21, 1
	s_cmp_ge_u32 s20, s4
	s_cselect_b32 s20, s22, s21
	s_xor_b32 s20, s20, s15
	s_sub_i32 s15, s20, s15
	s_mul_i32 s21, s14, s15
	s_ashr_i32 s24, s15, 31
	s_mul_hi_u32 s22, s8, s15
	s_add_i32 s25, s7, s21
	s_mul_i32 s21, s8, s24
	s_mul_i32 s23, s9, s15
	s_add_i32 s21, s22, s21
	s_mul_i32 s20, s8, s15
	s_add_i32 s21, s21, s23
	s_lshl_b64 s[20:21], s[20:21], 1
	s_add_u32 s28, s0, s20
	s_addc_u32 s29, s1, s21
	s_ashr_i32 s30, s25, 31
	s_mul_hi_u32 s26, s10, s25
	s_mul_i32 s20, s10, s30
	s_mul_i32 s27, s11, s25
	s_add_i32 s20, s26, s20
	s_mul_i32 s22, s10, s25
	s_add_i32 s23, s20, s27
	s_lshl_b64 s[20:21], s[22:23], 1
	s_add_u32 s20, s28, s20
	s_addc_u32 s21, s29, s21
	v_mov_b32_e32 v8, s21
	v_add_co_u32_e32 v9, vcc, s20, v0
	v_addc_co_u32_e32 v10, vcc, v8, v1, vcc
	v_add_co_u32_e32 v8, vcc, v9, v2
	v_addc_co_u32_e32 v9, vcc, v10, v3, vcc
	global_load_ushort v10, v[8:9], off
	s_mul_hi_u32 s21, s16, s15
	s_mul_i32 s23, s17, s15
	s_mul_i32 s20, s16, s15
	;; [unrolled: 1-line block ×3, first 2 shown]
	s_add_i32 s15, s21, s15
	s_add_i32 s21, s15, s23
	s_lshl_b64 s[20:21], s[20:21], 1
	s_mul_hi_u32 s24, s18, s25
	s_mul_i32 s26, s19, s25
	s_mul_i32 s22, s18, s25
	;; [unrolled: 1-line block ×3, first 2 shown]
	s_add_u32 s15, s2, s20
	s_addc_u32 s27, s3, s21
	s_add_i32 s20, s24, s25
	s_add_i32 s23, s20, s26
	s_lshl_b64 s[20:21], s[22:23], 1
	s_add_u32 s15, s15, s20
	s_addc_u32 s20, s27, s21
	v_mov_b32_e32 v8, s20
	v_add_co_u32_e32 v9, vcc, s15, v4
	v_addc_co_u32_e32 v11, vcc, v8, v5, vcc
	s_waitcnt lgkmcnt(0)
	s_add_i32 s7, s7, s5
	v_add_co_u32_e32 v8, vcc, v9, v6
	s_cmp_ge_i32 s7, s6
	v_addc_co_u32_e32 v9, vcc, v11, v7, vcc
	s_waitcnt vmcnt(0)
	global_store_short v[8:9], v10, off
	s_cbranch_scc0 .LBB6_9
.LBB6_10:
	s_endpgm
	.section	.rodata,"a",@progbits
	.p2align	6, 0x0
	.amdhsa_kernel _ZN2at6native12_GLOBAL__N_137upsample_bicubic2d_out_frame_parallelIN3c108BFloat16EfEEviT0_S5_bN5torch10headeronly6detail27GenericPackedTensorAccessorINS8_14TensorAccessorINS3_8ArrayRefIlEEKT_Lm3ENS7_16DefaultPtrTraitsElEENS_6detail16IndexBoundsCheckILm4ElEESE_Lm4ESF_lEENS9_INSA_ISC_SD_Lm3ESF_lEESJ_SD_Lm4ESF_lEE
		.amdhsa_group_segment_fixed_size 0
		.amdhsa_private_segment_fixed_size 0
		.amdhsa_kernarg_size 416
		.amdhsa_user_sgpr_count 6
		.amdhsa_user_sgpr_private_segment_buffer 1
		.amdhsa_user_sgpr_dispatch_ptr 0
		.amdhsa_user_sgpr_queue_ptr 0
		.amdhsa_user_sgpr_kernarg_segment_ptr 1
		.amdhsa_user_sgpr_dispatch_id 0
		.amdhsa_user_sgpr_flat_scratch_init 0
		.amdhsa_user_sgpr_kernarg_preload_length 0
		.amdhsa_user_sgpr_kernarg_preload_offset 0
		.amdhsa_user_sgpr_private_segment_size 0
		.amdhsa_uses_dynamic_stack 0
		.amdhsa_system_sgpr_private_segment_wavefront_offset 0
		.amdhsa_system_sgpr_workgroup_id_x 1
		.amdhsa_system_sgpr_workgroup_id_y 0
		.amdhsa_system_sgpr_workgroup_id_z 1
		.amdhsa_system_sgpr_workgroup_info 0
		.amdhsa_system_vgpr_workitem_id 0
		.amdhsa_next_free_vgpr 69
		.amdhsa_next_free_sgpr 61
		.amdhsa_accum_offset 72
		.amdhsa_reserve_vcc 1
		.amdhsa_reserve_flat_scratch 0
		.amdhsa_float_round_mode_32 0
		.amdhsa_float_round_mode_16_64 0
		.amdhsa_float_denorm_mode_32 3
		.amdhsa_float_denorm_mode_16_64 3
		.amdhsa_dx10_clamp 1
		.amdhsa_ieee_mode 1
		.amdhsa_fp16_overflow 0
		.amdhsa_tg_split 0
		.amdhsa_exception_fp_ieee_invalid_op 0
		.amdhsa_exception_fp_denorm_src 0
		.amdhsa_exception_fp_ieee_div_zero 0
		.amdhsa_exception_fp_ieee_overflow 0
		.amdhsa_exception_fp_ieee_underflow 0
		.amdhsa_exception_fp_ieee_inexact 0
		.amdhsa_exception_int_div_zero 0
	.end_amdhsa_kernel
	.section	.text._ZN2at6native12_GLOBAL__N_137upsample_bicubic2d_out_frame_parallelIN3c108BFloat16EfEEviT0_S5_bN5torch10headeronly6detail27GenericPackedTensorAccessorINS8_14TensorAccessorINS3_8ArrayRefIlEEKT_Lm3ENS7_16DefaultPtrTraitsElEENS_6detail16IndexBoundsCheckILm4ElEESE_Lm4ESF_lEENS9_INSA_ISC_SD_Lm3ESF_lEESJ_SD_Lm4ESF_lEE,"axG",@progbits,_ZN2at6native12_GLOBAL__N_137upsample_bicubic2d_out_frame_parallelIN3c108BFloat16EfEEviT0_S5_bN5torch10headeronly6detail27GenericPackedTensorAccessorINS8_14TensorAccessorINS3_8ArrayRefIlEEKT_Lm3ENS7_16DefaultPtrTraitsElEENS_6detail16IndexBoundsCheckILm4ElEESE_Lm4ESF_lEENS9_INSA_ISC_SD_Lm3ESF_lEESJ_SD_Lm4ESF_lEE,comdat
.Lfunc_end6:
	.size	_ZN2at6native12_GLOBAL__N_137upsample_bicubic2d_out_frame_parallelIN3c108BFloat16EfEEviT0_S5_bN5torch10headeronly6detail27GenericPackedTensorAccessorINS8_14TensorAccessorINS3_8ArrayRefIlEEKT_Lm3ENS7_16DefaultPtrTraitsElEENS_6detail16IndexBoundsCheckILm4ElEESE_Lm4ESF_lEENS9_INSA_ISC_SD_Lm3ESF_lEESJ_SD_Lm4ESF_lEE, .Lfunc_end6-_ZN2at6native12_GLOBAL__N_137upsample_bicubic2d_out_frame_parallelIN3c108BFloat16EfEEviT0_S5_bN5torch10headeronly6detail27GenericPackedTensorAccessorINS8_14TensorAccessorINS3_8ArrayRefIlEEKT_Lm3ENS7_16DefaultPtrTraitsElEENS_6detail16IndexBoundsCheckILm4ElEESE_Lm4ESF_lEENS9_INSA_ISC_SD_Lm3ESF_lEESJ_SD_Lm4ESF_lEE
                                        ; -- End function
	.section	.AMDGPU.csdata,"",@progbits
; Kernel info:
; codeLenInByte = 2776
; NumSgprs: 65
; NumVgprs: 69
; NumAgprs: 0
; TotalNumVgprs: 69
; ScratchSize: 0
; MemoryBound: 0
; FloatMode: 240
; IeeeMode: 1
; LDSByteSize: 0 bytes/workgroup (compile time only)
; SGPRBlocks: 8
; VGPRBlocks: 8
; NumSGPRsForWavesPerEU: 65
; NumVGPRsForWavesPerEU: 69
; AccumOffset: 72
; Occupancy: 7
; WaveLimiterHint : 1
; COMPUTE_PGM_RSRC2:SCRATCH_EN: 0
; COMPUTE_PGM_RSRC2:USER_SGPR: 6
; COMPUTE_PGM_RSRC2:TRAP_HANDLER: 0
; COMPUTE_PGM_RSRC2:TGID_X_EN: 1
; COMPUTE_PGM_RSRC2:TGID_Y_EN: 0
; COMPUTE_PGM_RSRC2:TGID_Z_EN: 1
; COMPUTE_PGM_RSRC2:TIDIG_COMP_CNT: 0
; COMPUTE_PGM_RSRC3_GFX90A:ACCUM_OFFSET: 17
; COMPUTE_PGM_RSRC3_GFX90A:TG_SPLIT: 0
	.section	.text._ZN2at6native12_GLOBAL__N_128upsample_bicubic2d_out_frameIN3c108BFloat16EfEEviT0_S5_bN5torch10headeronly6detail27GenericPackedTensorAccessorINS8_14TensorAccessorINS3_8ArrayRefIlEEKT_Lm3ENS7_16DefaultPtrTraitsElEENS_6detail16IndexBoundsCheckILm4ElEESE_Lm4ESF_lEENS9_INSA_ISC_SD_Lm3ESF_lEESJ_SD_Lm4ESF_lEE,"axG",@progbits,_ZN2at6native12_GLOBAL__N_128upsample_bicubic2d_out_frameIN3c108BFloat16EfEEviT0_S5_bN5torch10headeronly6detail27GenericPackedTensorAccessorINS8_14TensorAccessorINS3_8ArrayRefIlEEKT_Lm3ENS7_16DefaultPtrTraitsElEENS_6detail16IndexBoundsCheckILm4ElEESE_Lm4ESF_lEENS9_INSA_ISC_SD_Lm3ESF_lEESJ_SD_Lm4ESF_lEE,comdat
	.globl	_ZN2at6native12_GLOBAL__N_128upsample_bicubic2d_out_frameIN3c108BFloat16EfEEviT0_S5_bN5torch10headeronly6detail27GenericPackedTensorAccessorINS8_14TensorAccessorINS3_8ArrayRefIlEEKT_Lm3ENS7_16DefaultPtrTraitsElEENS_6detail16IndexBoundsCheckILm4ElEESE_Lm4ESF_lEENS9_INSA_ISC_SD_Lm3ESF_lEESJ_SD_Lm4ESF_lEE ; -- Begin function _ZN2at6native12_GLOBAL__N_128upsample_bicubic2d_out_frameIN3c108BFloat16EfEEviT0_S5_bN5torch10headeronly6detail27GenericPackedTensorAccessorINS8_14TensorAccessorINS3_8ArrayRefIlEEKT_Lm3ENS7_16DefaultPtrTraitsElEENS_6detail16IndexBoundsCheckILm4ElEESE_Lm4ESF_lEENS9_INSA_ISC_SD_Lm3ESF_lEESJ_SD_Lm4ESF_lEE
	.p2align	8
	.type	_ZN2at6native12_GLOBAL__N_128upsample_bicubic2d_out_frameIN3c108BFloat16EfEEviT0_S5_bN5torch10headeronly6detail27GenericPackedTensorAccessorINS8_14TensorAccessorINS3_8ArrayRefIlEEKT_Lm3ENS7_16DefaultPtrTraitsElEENS_6detail16IndexBoundsCheckILm4ElEESE_Lm4ESF_lEENS9_INSA_ISC_SD_Lm3ESF_lEESJ_SD_Lm4ESF_lEE,@function
_ZN2at6native12_GLOBAL__N_128upsample_bicubic2d_out_frameIN3c108BFloat16EfEEviT0_S5_bN5torch10headeronly6detail27GenericPackedTensorAccessorINS8_14TensorAccessorINS3_8ArrayRefIlEEKT_Lm3ENS7_16DefaultPtrTraitsElEENS_6detail16IndexBoundsCheckILm4ElEESE_Lm4ESF_lEENS9_INSA_ISC_SD_Lm3ESF_lEESJ_SD_Lm4ESF_lEE: ; @_ZN2at6native12_GLOBAL__N_128upsample_bicubic2d_out_frameIN3c108BFloat16EfEEviT0_S5_bN5torch10headeronly6detail27GenericPackedTensorAccessorINS8_14TensorAccessorINS3_8ArrayRefIlEEKT_Lm3ENS7_16DefaultPtrTraitsElEENS_6detail16IndexBoundsCheckILm4ElEESE_Lm4ESF_lEENS9_INSA_ISC_SD_Lm3ESF_lEESJ_SD_Lm4ESF_lEE
; %bb.0:
	s_load_dword s7, s[4:5], 0xac
	s_load_dwordx4 s[0:3], s[4:5], 0x0
	s_waitcnt lgkmcnt(0)
	s_and_b32 s7, s7, 0xffff
	s_mul_i32 s6, s6, s7
	v_add_u32_e32 v0, s6, v0
	v_cmp_gt_i32_e32 vcc, s0, v0
	s_and_saveexec_b64 s[6:7], vcc
	s_cbranch_execz .LBB7_14
; %bb.1:
	s_load_dwordx4 s[8:11], s[4:5], 0x70
	v_sub_u32_e32 v2, 0, v0
	v_max_i32_e32 v2, v0, v2
	s_load_dwordx8 s[36:43], s[4:5], 0x18
	s_waitcnt lgkmcnt(0)
	s_abs_i32 s0, s10
	v_cvt_f32_u32_e32 v1, s0
	s_sub_i32 s9, 0, s0
	v_xor_b32_e32 v3, s10, v0
	s_cmp_lg_u32 s40, s8
	v_rcp_iflag_f32_e32 v1, v1
	v_ashrrev_i32_e32 v3, 31, v3
	s_cselect_b64 s[6:7], -1, 0
	s_cmp_lg_u32 s42, s10
	v_mul_f32_e32 v1, 0x4f7ffffe, v1
	v_cvt_u32_f32_e32 v1, v1
	v_mul_lo_u32 v4, s9, v1
	v_mul_hi_u32 v4, v1, v4
	v_add_u32_e32 v1, v1, v4
	v_mul_hi_u32 v1, v2, v1
	v_mul_lo_u32 v4, v1, s0
	v_sub_u32_e32 v2, v2, v4
	v_add_u32_e32 v5, 1, v1
	v_cmp_le_u32_e32 vcc, s0, v2
	v_subrev_u32_e32 v4, s0, v2
	v_cndmask_b32_e32 v1, v1, v5, vcc
	v_cndmask_b32_e32 v2, v2, v4, vcc
	v_add_u32_e32 v4, 1, v1
	v_cmp_le_u32_e32 vcc, s0, v2
	v_cndmask_b32_e32 v1, v1, v4, vcc
	v_xor_b32_e32 v1, v1, v3
	s_cselect_b64 s[8:9], -1, 0
	v_sub_u32_e32 v25, v1, v3
	s_or_b64 s[8:9], s[8:9], s[6:7]
	v_mul_lo_u32 v1, v25, s10
	s_cmp_gt_i32 s36, 0
	v_sub_u32_e32 v24, v0, v1
	s_mov_b64 s[6:7], -1
	s_cselect_b64 s[28:29], -1, 0
	s_and_b64 vcc, exec, s[8:9]
	s_cbranch_vccz .LBB7_8
; %bb.2:
	s_andn2_b64 vcc, exec, s[28:29]
	s_cbranch_vccnz .LBB7_7
; %bb.3:
	v_cvt_f32_i32_e32 v0, v25
	s_bitcmp1_b32 s3, 0
	v_cvt_f32_i32_e32 v1, v24
	s_cselect_b64 vcc, -1, 0
	v_mul_f32_e32 v2, s1, v0
	v_add_f32_e32 v0, 0.5, v0
	v_fma_f32 v0, v0, s1, -0.5
	v_cndmask_b32_e32 v0, v0, v2, vcc
	v_floor_f32_e32 v2, v0
	v_cvt_i32_f32_e32 v3, v2
	v_mul_f32_e32 v2, s2, v1
	v_add_f32_e32 v1, 0.5, v1
	v_fma_f32 v1, v1, s2, -0.5
	v_cndmask_b32_e32 v1, v1, v2, vcc
	v_floor_f32_e32 v2, v1
	v_cvt_i32_f32_e32 v2, v2
	v_cvt_f32_i32_e32 v4, v3
	s_cmp_gt_i32 s38, 0
	s_cselect_b64 s[30:31], -1, 0
	s_add_i32 s2, s42, -1
	v_sub_f32_e32 v8, v0, v4
	v_add_u32_e32 v0, -1, v2
	v_min_i32_e32 v0, s2, v0
	v_cvt_f32_i32_e32 v5, v2
	v_max_i32_e32 v19, 0, v0
	v_min_i32_e32 v0, s2, v2
	v_max_i32_e32 v21, 0, v0
	v_add_u32_e32 v0, 1, v2
	v_min_i32_e32 v0, s2, v0
	v_max_i32_e32 v23, 0, v0
	v_add_u32_e32 v0, 2, v2
	v_sub_f32_e32 v7, v1, v5
	v_min_i32_e32 v0, s2, v0
	v_max_i32_e32 v33, 0, v0
	v_add_f32_e32 v10, 1.0, v7
	v_mov_b32_e32 v0, 0x40700000
	v_fmac_f32_e32 v0, 0xbf400000, v10
	v_mov_b32_e32 v13, 0xc0c00000
	v_fma_f32 v6, v10, v0, v13
	v_mov_b32_e32 v0, 0xc0100000
	v_fmac_f32_e32 v0, 0x3fa00000, v7
	v_mul_f32_e32 v11, v7, v0
	v_sub_f32_e32 v2, 1.0, v7
	v_mov_b32_e32 v0, 0xc0100000
	v_fmac_f32_e32 v0, 0x3fa00000, v2
	v_mul_f32_e32 v0, v2, v0
	v_fma_f32 v0, v2, v0, 1.0
	v_add_f32_e32 v4, 1.0, v2
	v_mov_b32_e32 v2, 0x40700000
	v_fmac_f32_e32 v2, 0xbf400000, v4
	v_fma_f32 v5, v4, v2, v13
	v_mov_b32_e32 v2, 0x40400000
	v_fmac_f32_e32 v2, v4, v5
	v_add_f32_e32 v5, 1.0, v8
	v_mov_b32_e32 v4, 0x40700000
	v_fmac_f32_e32 v4, 0xbf400000, v5
	v_fma_f32 v9, v5, v4, v13
	v_mov_b32_e32 v4, 0xc0100000
	s_mov_b32 s2, 1.0
	v_fmac_f32_e32 v4, 0x3fa00000, v8
	s_load_dwordx8 s[16:23], s[4:5], 0x80
	s_mov_b32 s3, 0x40400000
	v_mul_f32_e32 v4, v8, v4
	v_sub_f32_e32 v12, 1.0, v8
	v_mov_b32_e32 v14, 0x40700000
	v_mov_b32_e32 v15, 0xc0100000
	v_pk_fma_f32 v[4:5], v[8:9], v[4:5], s[2:3]
	v_add_f32_e32 v9, 1.0, v12
	s_load_dwordx2 s[34:35], s[4:5], 0x10
	s_load_dwordx8 s[8:15], s[4:5], 0x38
	s_load_dwordx2 s[0:1], s[4:5], 0x58
	s_mov_b32 s6, s3
	s_mov_b32 s7, s2
	v_fmac_f32_e32 v15, 0x3fa00000, v12
	v_fmac_f32_e32 v14, 0xbf400000, v9
	v_pk_fma_f32 v[6:7], v[6:7], v[10:11], s[6:7]
	v_mul_f32_e32 v8, v12, v15
	v_fmac_f32_e32 v13, v9, v14
	v_ashrrev_i32_e32 v10, 31, v25
	v_pk_fma_f32 v[8:9], v[8:9], v[12:13], s[2:3]
	s_waitcnt lgkmcnt(0)
	v_mul_lo_u32 v12, s21, v25
	v_mul_lo_u32 v13, s20, v10
	v_mad_u64_u32 v[10:11], s[2:3], s20, v25, 0
	v_add3_u32 v11, v11, v13, v12
	v_add_u32_e32 v1, -1, v3
	s_add_i32 s24, s40, -1
	v_lshlrev_b64 v[10:11], 1, v[10:11]
	v_mov_b32_e32 v12, s1
	v_add_co_u32_e32 v13, vcc, s0, v10
	v_ashrrev_i32_e32 v10, 31, v24
	v_min_i32_e32 v1, s24, v1
	v_addc_co_u32_e32 v12, vcc, v12, v11, vcc
	v_mul_lo_u32 v14, s23, v24
	v_mul_lo_u32 v15, s22, v10
	v_mad_u64_u32 v[10:11], s[0:1], s22, v24, 0
	v_max_i32_e32 v17, 0, v1
	v_add3_u32 v11, v11, v15, v14
	v_mad_u64_u32 v[14:15], s[0:1], s12, v17, 0
	v_mov_b32_e32 v16, v15
	v_mad_u64_u32 v[16:17], s[0:1], s13, v17, v[16:17]
	v_mov_b32_e32 v15, v16
	;; [unrolled: 2-line block ×5, first 2 shown]
	v_lshlrev_b64 v[10:11], 1, v[10:11]
	v_mad_u64_u32 v[20:21], s[0:1], s15, v21, v[20:21]
	v_add_co_u32_e32 v10, vcc, v13, v10
	v_mov_b32_e32 v19, v20
	v_mad_u64_u32 v[20:21], s[0:1], s14, v23, 0
	v_addc_co_u32_e32 v11, vcc, v12, v11, vcc
	v_lshlrev_b64 v[14:15], 1, v[14:15]
	v_lshlrev_b64 v[16:17], 1, v[16:17]
	v_mov_b32_e32 v22, v21
	v_add_co_u32_e32 v26, vcc, v14, v16
	v_mad_u64_u32 v[22:23], s[0:1], s15, v23, v[22:23]
	v_addc_co_u32_e32 v27, vcc, v15, v17, vcc
	v_lshlrev_b64 v[18:19], 1, v[18:19]
	v_mov_b32_e32 v21, v22
	v_mad_u64_u32 v[22:23], s[0:1], s14, v33, 0
	v_add_co_u32_e32 v28, vcc, v18, v14
	v_mov_b32_e32 v32, v23
	v_addc_co_u32_e32 v29, vcc, v19, v15, vcc
	v_lshlrev_b64 v[20:21], 1, v[20:21]
	v_mad_u64_u32 v[32:33], s[0:1], s15, v33, v[32:33]
	v_add_co_u32_e32 v30, vcc, v14, v20
	v_mov_b32_e32 v23, v32
	v_min_i32_e32 v1, s24, v3
	v_addc_co_u32_e32 v31, vcc, v15, v21, vcc
	v_lshlrev_b64 v[22:23], 1, v[22:23]
	v_max_i32_e32 v35, 0, v1
	v_add_co_u32_e32 v32, vcc, v14, v22
	v_addc_co_u32_e32 v33, vcc, v15, v23, vcc
	v_mad_u64_u32 v[14:15], s[0:1], s12, v35, 0
	v_mov_b32_e32 v34, v15
	v_mad_u64_u32 v[34:35], s[0:1], s13, v35, v[34:35]
	v_mov_b32_e32 v15, v34
	v_lshlrev_b64 v[14:15], 1, v[14:15]
	v_add_co_u32_e32 v34, vcc, v14, v16
	v_addc_co_u32_e32 v35, vcc, v15, v17, vcc
	v_add_co_u32_e32 v36, vcc, v14, v18
	v_addc_co_u32_e32 v37, vcc, v15, v19, vcc
	v_add_u32_e32 v1, 1, v3
	v_add_co_u32_e32 v38, vcc, v14, v20
	v_min_i32_e32 v1, s24, v1
	v_addc_co_u32_e32 v39, vcc, v15, v21, vcc
	v_max_i32_e32 v43, 0, v1
	v_add_co_u32_e32 v40, vcc, v14, v22
	v_addc_co_u32_e32 v41, vcc, v15, v23, vcc
	v_mad_u64_u32 v[14:15], s[0:1], s12, v43, 0
	v_mov_b32_e32 v42, v15
	v_mad_u64_u32 v[42:43], s[0:1], s13, v43, v[42:43]
	v_mov_b32_e32 v15, v42
	v_lshlrev_b64 v[14:15], 1, v[14:15]
	v_add_co_u32_e32 v42, vcc, v16, v14
	v_addc_co_u32_e32 v43, vcc, v17, v15, vcc
	v_add_co_u32_e32 v44, vcc, v18, v14
	v_addc_co_u32_e32 v45, vcc, v19, v15, vcc
	v_add_u32_e32 v1, 2, v3
	v_add_co_u32_e32 v46, vcc, v14, v20
	v_min_i32_e32 v1, s24, v1
	v_addc_co_u32_e32 v47, vcc, v15, v21, vcc
	v_max_i32_e32 v51, 0, v1
	v_add_co_u32_e32 v48, vcc, v22, v14
	v_addc_co_u32_e32 v49, vcc, v23, v15, vcc
	v_mad_u64_u32 v[14:15], s[0:1], s12, v51, 0
	v_mov_b32_e32 v50, v15
	v_mad_u64_u32 v[50:51], s[0:1], s13, v51, v[50:51]
	v_mov_b32_e32 v15, v50
	v_lshlrev_b64 v[14:15], 1, v[14:15]
	v_add_co_u32_e32 v50, vcc, v16, v14
	v_addc_co_u32_e32 v51, vcc, v17, v15, vcc
	v_add_co_u32_e32 v52, vcc, v18, v14
	v_addc_co_u32_e32 v53, vcc, v19, v15, vcc
	;; [unrolled: 2-line block ×3, first 2 shown]
	v_add_co_u32_e32 v56, vcc, v14, v22
	s_mov_b32 s33, 0
	v_mov_b32_e32 v3, v2
	v_mov_b32_e32 v1, v0
	v_mov_b32_e32 v12, v7
	v_mov_b32_e32 v13, v6
	s_lshl_b64 s[40:41], s[16:17], 1
	s_lshl_b64 s[42:43], s[18:19], 1
	;; [unrolled: 1-line block ×4, first 2 shown]
	v_addc_co_u32_e32 v57, vcc, v15, v23, vcc
	s_movk_i32 s37, 0x7fff
	v_mov_b32_e32 v58, 0x7fc0
	s_branch .LBB7_5
.LBB7_4:                                ;   in Loop: Header=BB7_5 Depth=1
	s_add_i32 s33, s33, 1
	s_add_u32 s34, s34, s44
	v_mov_b32_e32 v14, s41
	s_addc_u32 s35, s35, s45
	v_add_co_u32_e32 v10, vcc, s40, v10
	s_cmp_lg_u32 s33, s36
	v_addc_co_u32_e32 v11, vcc, v11, v14, vcc
	s_cbranch_scc0 .LBB7_7
.LBB7_5:                                ; =>This Loop Header: Depth=1
                                        ;     Child Loop BB7_6 Depth 2
	s_andn2_b64 vcc, exec, s[30:31]
	s_mov_b64 s[48:49], s[34:35]
	v_pk_mov_b32 v[14:15], v[10:11], v[10:11] op_sel:[0,1]
	s_mov_b32 s39, s38
	s_cbranch_vccnz .LBB7_4
.LBB7_6:                                ;   Parent Loop BB7_5 Depth=1
                                        ; =>  This Inner Loop Header: Depth=2
	v_mov_b32_e32 v59, s49
	v_add_co_u32_e32 v18, vcc, s48, v30
	v_add_co_u32_e64 v16, s[0:1], s48, v32
	v_add_co_u32_e64 v22, s[6:7], s48, v40
	;; [unrolled: 1-line block ×9, first 2 shown]
	v_addc_co_u32_e32 v19, vcc, v59, v31, vcc
	v_addc_co_u32_e64 v65, vcc, v59, v39, s[12:13]
	v_addc_co_u32_e64 v23, vcc, v59, v41, s[6:7]
	;; [unrolled: 1-line block ×9, first 2 shown]
	v_add_co_u32_e32 v80, vcc, s48, v54
	v_add_co_u32_e64 v20, s[2:3], s48, v36
	v_addc_co_u32_e32 v81, vcc, v59, v55, vcc
	v_add_co_u32_e64 v60, s[8:9], s48, v28
	v_add_co_u32_e64 v62, s[10:11], s48, v26
	;; [unrolled: 1-line block ×3, first 2 shown]
	v_addc_co_u32_e64 v21, s[2:3], v59, v37, s[2:3]
	v_add_co_u32_e32 v82, vcc, s48, v56
	v_addc_co_u32_e64 v79, s[26:27], v59, v35, s[26:27]
	v_addc_co_u32_e64 v61, s[8:9], v59, v29, s[8:9]
	;; [unrolled: 1-line block ×3, first 2 shown]
	v_addc_co_u32_e32 v83, vcc, v59, v57, vcc
	global_load_ushort v59, v[18:19], off
	s_nop 0
	global_load_ushort v18, v[20:21], off
	s_nop 0
	;; [unrolled: 2-line block ×3, first 2 shown]
	global_load_ushort v65, v[22:23], off
	global_load_ushort v19, v[78:79], off
	s_nop 0
	global_load_ushort v78, v[16:17], off
	s_nop 0
	global_load_ushort v16, v[60:61], off
	global_load_ushort v20, v[62:63], off
	;; [unrolled: 1-line block ×3, first 2 shown]
	s_nop 0
	global_load_ushort v68, v[70:71], off
	global_load_ushort v21, v[74:75], off
	global_load_ushort v23, v[76:77], off
	global_load_ushort v69, v[80:81], off
	s_nop 0
	global_load_ushort v70, v[82:83], off
	global_load_ushort v71, v[72:73], off
	;; [unrolled: 1-line block ×3, first 2 shown]
	s_add_i32 s39, s39, -1
	s_add_u32 s48, s48, s46
	v_mov_b32_e32 v72, s43
	s_addc_u32 s49, s49, s47
	s_cmp_lg_u32 s39, 0
	s_waitcnt vmcnt(15)
	v_lshlrev_b32_e32 v61, 16, v59
	s_waitcnt vmcnt(14)
	v_lshlrev_b32_e32 v18, 16, v18
	;; [unrolled: 2-line block ×5, first 2 shown]
	v_lshlrev_b32_e32 v16, 16, v19
	s_waitcnt vmcnt(8)
	v_lshlrev_b32_e32 v19, 16, v20
	s_waitcnt vmcnt(7)
	;; [unrolled: 2-line block ×3, first 2 shown]
	v_lshlrev_b32_e32 v21, 16, v21
	v_pk_mul_f32 v[16:17], v[6:7], v[16:17]
	s_waitcnt vmcnt(4)
	v_lshlrev_b32_e32 v23, 16, v23
	v_pk_mul_f32 v[20:21], v[12:13], v[20:21]
	v_pk_fma_f32 v[16:17], v[12:13], v[18:19], v[16:17]
	s_waitcnt vmcnt(0)
	v_lshlrev_b32_e32 v22, 16, v60
	v_lshlrev_b32_e32 v60, 16, v64
	;; [unrolled: 1-line block ×4, first 2 shown]
	v_pk_fma_f32 v[18:19], v[6:7], v[22:23], v[20:21]
	v_pk_fma_f32 v[16:17], v[0:1], v[60:61], v[16:17]
	v_lshlrev_b32_e32 v67, 16, v70
	v_lshlrev_b32_e32 v66, 16, v71
	v_pk_fma_f32 v[18:19], v[0:1], v[64:65], v[18:19]
	v_pk_fma_f32 v[16:17], v[2:3], v[62:63], v[16:17]
	;; [unrolled: 1-line block ×3, first 2 shown]
	v_pk_mul_f32 v[16:17], v[4:5], v[16:17]
	v_pk_mul_f32 v[18:19], v[8:9], v[18:19]
	v_add_f32_e32 v16, v16, v17
	v_add_f32_e32 v16, v18, v16
	;; [unrolled: 1-line block ×3, first 2 shown]
	v_bfe_u32 v17, v16, 16, 1
	v_add3_u32 v17, v16, v17, s37
	v_lshrrev_b32_e32 v17, 16, v17
	v_cmp_o_f32_e32 vcc, v16, v16
	v_cndmask_b32_e32 v16, v58, v17, vcc
	global_store_short v[14:15], v16, off
	v_add_co_u32_e32 v14, vcc, s42, v14
	v_addc_co_u32_e32 v15, vcc, v15, v72, vcc
	s_cbranch_scc1 .LBB7_6
	s_branch .LBB7_4
.LBB7_7:
	s_mov_b64 s[6:7], 0
.LBB7_8:
	s_andn2_b64 vcc, exec, s[6:7]
	s_cbranch_vccnz .LBB7_14
; %bb.9:
	s_andn2_b64 vcc, exec, s[28:29]
	s_cbranch_vccnz .LBB7_14
; %bb.10:
	s_load_dwordx8 s[8:15], s[4:5], 0x38
	s_load_dwordx2 s[0:1], s[4:5], 0x10
	s_load_dwordx2 s[2:3], s[4:5], 0x58
	v_ashrrev_i32_e32 v2, 31, v25
	v_ashrrev_i32_e32 v5, 31, v24
	s_load_dwordx8 s[20:27], s[4:5], 0x80
	s_waitcnt lgkmcnt(0)
	v_mul_lo_u32 v3, s13, v25
	v_mul_lo_u32 v4, s12, v2
	v_mad_u64_u32 v[0:1], s[6:7], s12, v25, 0
	v_add3_u32 v1, v1, v4, v3
	v_lshlrev_b64 v[0:1], 1, v[0:1]
	v_mov_b32_e32 v3, s1
	v_add_co_u32_e32 v4, vcc, s0, v0
	v_addc_co_u32_e32 v3, vcc, v3, v1, vcc
	v_mul_lo_u32 v6, s15, v24
	v_mul_lo_u32 v7, s14, v5
	v_mad_u64_u32 v[0:1], s[0:1], s14, v24, 0
	v_add3_u32 v1, v1, v7, v6
	v_lshlrev_b64 v[0:1], 1, v[0:1]
	v_add_co_u32_e32 v0, vcc, v4, v0
	v_addc_co_u32_e32 v1, vcc, v3, v1, vcc
	v_mul_lo_u32 v4, s25, v25
	v_mul_lo_u32 v6, s24, v2
	v_mad_u64_u32 v[2:3], s[0:1], s24, v25, 0
	v_add3_u32 v3, v3, v6, v4
	v_lshlrev_b64 v[2:3], 1, v[2:3]
	v_mov_b32_e32 v4, s3
	v_add_co_u32_e32 v6, vcc, s2, v2
	v_addc_co_u32_e32 v4, vcc, v4, v3, vcc
	v_mul_lo_u32 v7, s27, v24
	v_mul_lo_u32 v5, s26, v5
	v_mad_u64_u32 v[2:3], s[0:1], s26, v24, 0
	v_add3_u32 v3, v3, v5, v7
	s_cmp_gt_i32 s38, 0
	v_lshlrev_b64 v[2:3], 1, v[2:3]
	v_add_co_u32_e32 v2, vcc, v6, v2
	s_cselect_b64 s[0:1], -1, 0
	v_addc_co_u32_e32 v3, vcc, v4, v3, vcc
	s_lshl_b64 s[2:3], s[20:21], 1
	s_lshl_b64 s[6:7], s[8:9], 1
	v_cndmask_b32_e64 v4, 0, 1, s[0:1]
	s_mov_b32 s16, 0
	s_lshl_b64 s[4:5], s[22:23], 1
	s_lshl_b64 s[8:9], s[10:11], 1
	v_cmp_ne_u32_e64 s[0:1], 1, v4
	v_mov_b32_e32 v8, s3
	v_mov_b32_e32 v9, s7
	s_branch .LBB7_12
.LBB7_11:                               ;   in Loop: Header=BB7_12 Depth=1
	v_add_co_u32_e32 v2, vcc, s2, v2
	v_addc_co_u32_e32 v3, vcc, v3, v8, vcc
	s_add_i32 s16, s16, 1
	v_add_co_u32_e32 v0, vcc, s6, v0
	s_cmp_eq_u32 s16, s36
	v_addc_co_u32_e32 v1, vcc, v1, v9, vcc
	s_cbranch_scc1 .LBB7_14
.LBB7_12:                               ; =>This Loop Header: Depth=1
                                        ;     Child Loop BB7_13 Depth 2
	s_and_b64 vcc, exec, s[0:1]
	v_pk_mov_b32 v[4:5], v[0:1], v[0:1] op_sel:[0,1]
	v_pk_mov_b32 v[6:7], v[2:3], v[2:3] op_sel:[0,1]
	s_mov_b32 s3, s38
	s_cbranch_vccnz .LBB7_11
.LBB7_13:                               ;   Parent Loop BB7_12 Depth=1
                                        ; =>  This Inner Loop Header: Depth=2
	global_load_ushort v10, v[4:5], off
	v_mov_b32_e32 v12, s9
	v_add_co_u32_e32 v4, vcc, s8, v4
	v_addc_co_u32_e32 v5, vcc, v5, v12, vcc
	s_add_i32 s3, s3, -1
	v_mov_b32_e32 v11, s5
	s_cmp_eq_u32 s3, 0
	s_waitcnt vmcnt(0)
	global_store_short v[6:7], v10, off
	v_add_co_u32_e32 v6, vcc, s4, v6
	v_addc_co_u32_e32 v7, vcc, v7, v11, vcc
	s_cbranch_scc0 .LBB7_13
	s_branch .LBB7_11
.LBB7_14:
	s_endpgm
	.section	.rodata,"a",@progbits
	.p2align	6, 0x0
	.amdhsa_kernel _ZN2at6native12_GLOBAL__N_128upsample_bicubic2d_out_frameIN3c108BFloat16EfEEviT0_S5_bN5torch10headeronly6detail27GenericPackedTensorAccessorINS8_14TensorAccessorINS3_8ArrayRefIlEEKT_Lm3ENS7_16DefaultPtrTraitsElEENS_6detail16IndexBoundsCheckILm4ElEESE_Lm4ESF_lEENS9_INSA_ISC_SD_Lm3ESF_lEESJ_SD_Lm4ESF_lEE
		.amdhsa_group_segment_fixed_size 0
		.amdhsa_private_segment_fixed_size 0
		.amdhsa_kernarg_size 416
		.amdhsa_user_sgpr_count 6
		.amdhsa_user_sgpr_private_segment_buffer 1
		.amdhsa_user_sgpr_dispatch_ptr 0
		.amdhsa_user_sgpr_queue_ptr 0
		.amdhsa_user_sgpr_kernarg_segment_ptr 1
		.amdhsa_user_sgpr_dispatch_id 0
		.amdhsa_user_sgpr_flat_scratch_init 0
		.amdhsa_user_sgpr_kernarg_preload_length 0
		.amdhsa_user_sgpr_kernarg_preload_offset 0
		.amdhsa_user_sgpr_private_segment_size 0
		.amdhsa_uses_dynamic_stack 0
		.amdhsa_system_sgpr_private_segment_wavefront_offset 0
		.amdhsa_system_sgpr_workgroup_id_x 1
		.amdhsa_system_sgpr_workgroup_id_y 0
		.amdhsa_system_sgpr_workgroup_id_z 0
		.amdhsa_system_sgpr_workgroup_info 0
		.amdhsa_system_vgpr_workitem_id 0
		.amdhsa_next_free_vgpr 84
		.amdhsa_next_free_sgpr 50
		.amdhsa_accum_offset 84
		.amdhsa_reserve_vcc 1
		.amdhsa_reserve_flat_scratch 0
		.amdhsa_float_round_mode_32 0
		.amdhsa_float_round_mode_16_64 0
		.amdhsa_float_denorm_mode_32 3
		.amdhsa_float_denorm_mode_16_64 3
		.amdhsa_dx10_clamp 1
		.amdhsa_ieee_mode 1
		.amdhsa_fp16_overflow 0
		.amdhsa_tg_split 0
		.amdhsa_exception_fp_ieee_invalid_op 0
		.amdhsa_exception_fp_denorm_src 0
		.amdhsa_exception_fp_ieee_div_zero 0
		.amdhsa_exception_fp_ieee_overflow 0
		.amdhsa_exception_fp_ieee_underflow 0
		.amdhsa_exception_fp_ieee_inexact 0
		.amdhsa_exception_int_div_zero 0
	.end_amdhsa_kernel
	.section	.text._ZN2at6native12_GLOBAL__N_128upsample_bicubic2d_out_frameIN3c108BFloat16EfEEviT0_S5_bN5torch10headeronly6detail27GenericPackedTensorAccessorINS8_14TensorAccessorINS3_8ArrayRefIlEEKT_Lm3ENS7_16DefaultPtrTraitsElEENS_6detail16IndexBoundsCheckILm4ElEESE_Lm4ESF_lEENS9_INSA_ISC_SD_Lm3ESF_lEESJ_SD_Lm4ESF_lEE,"axG",@progbits,_ZN2at6native12_GLOBAL__N_128upsample_bicubic2d_out_frameIN3c108BFloat16EfEEviT0_S5_bN5torch10headeronly6detail27GenericPackedTensorAccessorINS8_14TensorAccessorINS3_8ArrayRefIlEEKT_Lm3ENS7_16DefaultPtrTraitsElEENS_6detail16IndexBoundsCheckILm4ElEESE_Lm4ESF_lEENS9_INSA_ISC_SD_Lm3ESF_lEESJ_SD_Lm4ESF_lEE,comdat
.Lfunc_end7:
	.size	_ZN2at6native12_GLOBAL__N_128upsample_bicubic2d_out_frameIN3c108BFloat16EfEEviT0_S5_bN5torch10headeronly6detail27GenericPackedTensorAccessorINS8_14TensorAccessorINS3_8ArrayRefIlEEKT_Lm3ENS7_16DefaultPtrTraitsElEENS_6detail16IndexBoundsCheckILm4ElEESE_Lm4ESF_lEENS9_INSA_ISC_SD_Lm3ESF_lEESJ_SD_Lm4ESF_lEE, .Lfunc_end7-_ZN2at6native12_GLOBAL__N_128upsample_bicubic2d_out_frameIN3c108BFloat16EfEEviT0_S5_bN5torch10headeronly6detail27GenericPackedTensorAccessorINS8_14TensorAccessorINS3_8ArrayRefIlEEKT_Lm3ENS7_16DefaultPtrTraitsElEENS_6detail16IndexBoundsCheckILm4ElEESE_Lm4ESF_lEENS9_INSA_ISC_SD_Lm3ESF_lEESJ_SD_Lm4ESF_lEE
                                        ; -- End function
	.section	.AMDGPU.csdata,"",@progbits
; Kernel info:
; codeLenInByte = 2448
; NumSgprs: 54
; NumVgprs: 84
; NumAgprs: 0
; TotalNumVgprs: 84
; ScratchSize: 0
; MemoryBound: 0
; FloatMode: 240
; IeeeMode: 1
; LDSByteSize: 0 bytes/workgroup (compile time only)
; SGPRBlocks: 6
; VGPRBlocks: 10
; NumSGPRsForWavesPerEU: 54
; NumVGPRsForWavesPerEU: 84
; AccumOffset: 84
; Occupancy: 5
; WaveLimiterHint : 1
; COMPUTE_PGM_RSRC2:SCRATCH_EN: 0
; COMPUTE_PGM_RSRC2:USER_SGPR: 6
; COMPUTE_PGM_RSRC2:TRAP_HANDLER: 0
; COMPUTE_PGM_RSRC2:TGID_X_EN: 1
; COMPUTE_PGM_RSRC2:TGID_Y_EN: 0
; COMPUTE_PGM_RSRC2:TGID_Z_EN: 0
; COMPUTE_PGM_RSRC2:TIDIG_COMP_CNT: 0
; COMPUTE_PGM_RSRC3_GFX90A:ACCUM_OFFSET: 20
; COMPUTE_PGM_RSRC3_GFX90A:TG_SPLIT: 0
	.section	.text._ZN2at6native12_GLOBAL__N_137upsample_bicubic2d_backward_out_frameIddEEviT0_S3_bN5torch10headeronly6detail27GenericPackedTensorAccessorINS6_14TensorAccessorIN3c108ArrayRefIlEET_Lm3ENS5_16DefaultPtrTraitsElEENS_6detail16IndexBoundsCheckILm4ElEESC_Lm4ESD_lEENS7_INS8_ISB_KSC_Lm3ESD_lEESH_SJ_Lm4ESD_lEE,"axG",@progbits,_ZN2at6native12_GLOBAL__N_137upsample_bicubic2d_backward_out_frameIddEEviT0_S3_bN5torch10headeronly6detail27GenericPackedTensorAccessorINS6_14TensorAccessorIN3c108ArrayRefIlEET_Lm3ENS5_16DefaultPtrTraitsElEENS_6detail16IndexBoundsCheckILm4ElEESC_Lm4ESD_lEENS7_INS8_ISB_KSC_Lm3ESD_lEESH_SJ_Lm4ESD_lEE,comdat
	.globl	_ZN2at6native12_GLOBAL__N_137upsample_bicubic2d_backward_out_frameIddEEviT0_S3_bN5torch10headeronly6detail27GenericPackedTensorAccessorINS6_14TensorAccessorIN3c108ArrayRefIlEET_Lm3ENS5_16DefaultPtrTraitsElEENS_6detail16IndexBoundsCheckILm4ElEESC_Lm4ESD_lEENS7_INS8_ISB_KSC_Lm3ESD_lEESH_SJ_Lm4ESD_lEE ; -- Begin function _ZN2at6native12_GLOBAL__N_137upsample_bicubic2d_backward_out_frameIddEEviT0_S3_bN5torch10headeronly6detail27GenericPackedTensorAccessorINS6_14TensorAccessorIN3c108ArrayRefIlEET_Lm3ENS5_16DefaultPtrTraitsElEENS_6detail16IndexBoundsCheckILm4ElEESC_Lm4ESD_lEENS7_INS8_ISB_KSC_Lm3ESD_lEESH_SJ_Lm4ESD_lEE
	.p2align	8
	.type	_ZN2at6native12_GLOBAL__N_137upsample_bicubic2d_backward_out_frameIddEEviT0_S3_bN5torch10headeronly6detail27GenericPackedTensorAccessorINS6_14TensorAccessorIN3c108ArrayRefIlEET_Lm3ENS5_16DefaultPtrTraitsElEENS_6detail16IndexBoundsCheckILm4ElEESC_Lm4ESD_lEENS7_INS8_ISB_KSC_Lm3ESD_lEESH_SJ_Lm4ESD_lEE,@function
_ZN2at6native12_GLOBAL__N_137upsample_bicubic2d_backward_out_frameIddEEviT0_S3_bN5torch10headeronly6detail27GenericPackedTensorAccessorINS6_14TensorAccessorIN3c108ArrayRefIlEET_Lm3ENS5_16DefaultPtrTraitsElEENS_6detail16IndexBoundsCheckILm4ElEESC_Lm4ESD_lEENS7_INS8_ISB_KSC_Lm3ESD_lEESH_SJ_Lm4ESD_lEE: ; @_ZN2at6native12_GLOBAL__N_137upsample_bicubic2d_backward_out_frameIddEEviT0_S3_bN5torch10headeronly6detail27GenericPackedTensorAccessorINS6_14TensorAccessorIN3c108ArrayRefIlEET_Lm3ENS5_16DefaultPtrTraitsElEENS_6detail16IndexBoundsCheckILm4ElEESC_Lm4ESD_lEENS7_INS8_ISB_KSC_Lm3ESD_lEESH_SJ_Lm4ESD_lEE
; %bb.0:
	s_load_dword s0, s[4:5], 0xbc
	s_load_dword s1, s[4:5], 0x0
	s_waitcnt lgkmcnt(0)
	s_and_b32 s0, s0, 0xffff
	s_mul_i32 s6, s6, s0
	v_add_u32_e32 v0, s6, v0
	v_cmp_gt_i32_e32 vcc, s1, v0
	s_and_saveexec_b64 s[0:1], vcc
	s_cbranch_execz .LBB8_14
; %bb.1:
	s_load_dwordx4 s[0:3], s[4:5], 0x80
	v_sub_u32_e32 v2, 0, v0
	v_max_i32_e32 v2, v0, v2
	s_load_dwordx8 s[8:15], s[4:5], 0x28
	s_waitcnt lgkmcnt(0)
	s_abs_i32 s3, s2
	v_cvt_f32_u32_e32 v1, s3
	s_sub_i32 s6, 0, s3
	v_xor_b32_e32 v3, s2, v0
	v_ashrrev_i32_e32 v3, 31, v3
	v_rcp_iflag_f32_e32 v1, v1
	s_cmp_lg_u32 s12, s0
	s_cselect_b64 s[0:1], -1, 0
	s_cmp_lg_u32 s14, s2
	v_mul_f32_e32 v1, 0x4f7ffffe, v1
	v_cvt_u32_f32_e32 v1, v1
	v_mul_lo_u32 v4, s6, v1
	v_mul_hi_u32 v4, v1, v4
	v_add_u32_e32 v1, v1, v4
	v_mul_hi_u32 v1, v2, v1
	v_mul_lo_u32 v4, v1, s3
	v_sub_u32_e32 v2, v2, v4
	v_add_u32_e32 v5, 1, v1
	v_cmp_le_u32_e32 vcc, s3, v2
	v_subrev_u32_e32 v4, s3, v2
	v_cndmask_b32_e32 v1, v1, v5, vcc
	v_cndmask_b32_e32 v2, v2, v4, vcc
	v_add_u32_e32 v4, 1, v1
	v_cmp_le_u32_e32 vcc, s3, v2
	v_cndmask_b32_e32 v1, v1, v4, vcc
	v_xor_b32_e32 v1, v1, v3
	v_sub_u32_e32 v21, v1, v3
	v_mul_lo_u32 v1, v21, s2
	s_cselect_b64 s[2:3], -1, 0
	s_or_b64 s[2:3], s[2:3], s[0:1]
	v_sub_u32_e32 v20, v0, v1
	s_mov_b64 s[0:1], -1
	s_and_b64 vcc, exec, s[2:3]
	s_cbranch_vccz .LBB8_8
; %bb.2:
	s_cmp_lt_i32 s8, 1
	s_cbranch_scc1 .LBB8_7
; %bb.3:
	s_load_dword s6, s[4:5], 0x18
	s_load_dwordx4 s[0:3], s[4:5], 0x8
	v_cvt_f64_i32_e32 v[0:1], v20
	v_add_f64 v[2:3], v[0:1], 0.5
	v_mov_b32_e32 v16, 0
	s_waitcnt lgkmcnt(0)
	s_bitcmp1_b32 s6, 0
	v_mul_f64 v[0:1], v[0:1], s[2:3]
	v_fma_f64 v[2:3], v[2:3], s[2:3], -0.5
	s_cselect_b64 vcc, -1, 0
	v_cndmask_b32_e32 v1, v3, v1, vcc
	v_cndmask_b32_e32 v0, v2, v0, vcc
	v_cvt_f32_f64_e32 v2, v[0:1]
	v_floor_f32_e32 v2, v2
	v_cvt_i32_f32_e32 v26, v2
	v_cvt_f64_i32_e32 v[2:3], v21
	v_mul_f64 v[4:5], v[2:3], s[0:1]
	v_add_f64 v[2:3], v[2:3], 0.5
	v_fma_f64 v[2:3], v[2:3], s[0:1], -0.5
	v_cndmask_b32_e32 v3, v3, v5, vcc
	v_cndmask_b32_e32 v2, v2, v4, vcc
	v_cvt_f32_f64_e32 v4, v[2:3]
	v_floor_f32_e32 v4, v4
	v_cvt_i32_f32_e32 v27, v4
	v_cvt_f64_i32_e32 v[4:5], v26
	v_add_f64 v[6:7], v[0:1], -v[4:5]
	v_mov_b32_e32 v17, 0x400e0000
	v_cvt_f64_i32_e32 v[0:1], v27
	v_add_f64 v[14:15], v[2:3], -v[0:1]
	v_add_f64 v[2:3], v[6:7], 1.0
	v_pk_mov_b32 v[0:1], v[16:17], v[16:17] op_sel:[0,1]
	v_mov_b32_e32 v18, 0
	v_fmac_f64_e32 v[0:1], 0xbfe80000, v[2:3]
	v_mov_b32_e32 v19, 0xc0180000
	v_fma_f64 v[4:5], v[2:3], v[0:1], v[18:19]
	v_mov_b32_e32 v0, 0
	v_mov_b32_e32 v22, 0
	;; [unrolled: 1-line block ×4, first 2 shown]
	v_fma_f64 v[2:3], v[2:3], v[4:5], v[0:1]
	v_pk_mov_b32 v[4:5], v[22:23], v[22:23] op_sel:[0,1]
	v_fmac_f64_e32 v[4:5], 0x3ff40000, v[6:7]
	v_mul_f64 v[4:5], v[6:7], v[4:5]
	v_fma_f64 v[4:5], v[6:7], v[4:5], 1.0
	v_add_f64 v[8:9], -v[6:7], 1.0
	v_pk_mov_b32 v[6:7], v[22:23], v[22:23] op_sel:[0,1]
	v_fmac_f64_e32 v[6:7], 0x3ff40000, v[8:9]
	v_mul_f64 v[6:7], v[8:9], v[6:7]
	v_fma_f64 v[6:7], v[8:9], v[6:7], 1.0
	v_add_f64 v[8:9], v[8:9], 1.0
	v_pk_mov_b32 v[10:11], v[16:17], v[16:17] op_sel:[0,1]
	v_fmac_f64_e32 v[10:11], 0xbfe80000, v[8:9]
	v_fma_f64 v[10:11], v[8:9], v[10:11], v[18:19]
	v_fma_f64 v[8:9], v[8:9], v[10:11], v[0:1]
	v_add_f64 v[10:11], v[14:15], 1.0
	v_pk_mov_b32 v[12:13], v[16:17], v[16:17] op_sel:[0,1]
	v_fmac_f64_e32 v[12:13], 0xbfe80000, v[10:11]
	v_fma_f64 v[12:13], v[10:11], v[12:13], v[18:19]
	v_fma_f64 v[10:11], v[10:11], v[12:13], v[0:1]
	v_pk_mov_b32 v[12:13], v[22:23], v[22:23] op_sel:[0,1]
	v_fmac_f64_e32 v[12:13], 0x3ff40000, v[14:15]
	v_add_f64 v[24:25], -v[14:15], 1.0
	s_load_dwordx8 s[16:23], s[4:5], 0x90
	v_mul_f64 v[12:13], v[14:15], v[12:13]
	v_fmac_f64_e32 v[22:23], 0x3ff40000, v[24:25]
	v_fma_f64 v[12:13], v[14:15], v[12:13], 1.0
	v_mul_f64 v[14:15], v[24:25], v[22:23]
	v_add_f64 v[22:23], v[24:25], 1.0
	v_fmac_f64_e32 v[16:17], 0xbfe80000, v[22:23]
	s_load_dwordx8 s[24:31], s[4:5], 0x48
	s_load_dwordx2 s[6:7], s[4:5], 0x68
	v_fmac_f64_e32 v[18:19], v[22:23], v[16:17]
	v_ashrrev_i32_e32 v16, 31, v21
	v_fmac_f64_e32 v[0:1], v[22:23], v[18:19]
	s_waitcnt lgkmcnt(0)
	v_mul_lo_u32 v18, s21, v21
	v_mul_lo_u32 v19, s20, v16
	v_mad_u64_u32 v[16:17], s[20:21], s20, v21, 0
	v_add3_u32 v17, v17, v19, v18
	v_lshlrev_b64 v[16:17], 3, v[16:17]
	v_mov_b32_e32 v18, s7
	v_add_co_u32_e32 v19, vcc, s6, v16
	v_ashrrev_i32_e32 v16, 31, v20
	v_addc_co_u32_e32 v18, vcc, v18, v17, vcc
	v_mul_lo_u32 v22, s23, v20
	v_mul_lo_u32 v23, s22, v16
	v_mad_u64_u32 v[16:17], s[6:7], s22, v20, 0
	v_add3_u32 v17, v17, v23, v22
	v_lshlrev_b64 v[16:17], 3, v[16:17]
	s_cmp_gt_i32 s10, 0
	v_add_co_u32_e32 v16, vcc, v19, v16
	s_cselect_b64 s[2:3], -1, 0
	v_addc_co_u32_e32 v17, vcc, v18, v17, vcc
	v_add_u32_e32 v18, -1, v27
	s_add_i32 s6, s12, -1
	v_add_u32_e32 v19, -1, v26
	s_add_i32 s7, s14, -1
	v_min_i32_e32 v18, s6, v18
	v_max_i32_e32 v23, 0, v18
	v_min_i32_e32 v18, s7, v19
	v_fma_f64 v[14:15], v[24:25], v[14:15], 1.0
	v_max_i32_e32 v25, 0, v18
	v_min_i32_e32 v18, s7, v26
	v_max_i32_e32 v28, 0, v18
	v_add_u32_e32 v18, 1, v26
	v_min_i32_e32 v18, s7, v18
	v_max_i32_e32 v29, 0, v18
	v_add_u32_e32 v18, 2, v26
	v_min_i32_e32 v18, s7, v18
	v_max_i32_e32 v31, 0, v18
	v_min_i32_e32 v18, s6, v27
	v_max_i32_e32 v32, 0, v18
	v_add_u32_e32 v18, 1, v27
	v_min_i32_e32 v18, s6, v18
	v_max_i32_e32 v39, 0, v18
	v_add_u32_e32 v18, 2, v27
	v_min_i32_e32 v18, s6, v18
	v_max_i32_e32 v55, 0, v18
	v_mad_u64_u32 v[18:19], s[6:7], s28, v23, 0
	v_mov_b32_e32 v22, v19
	v_mad_u64_u32 v[22:23], s[6:7], s29, v23, v[22:23]
	v_mov_b32_e32 v19, v22
	;; [unrolled: 2-line block ×6, first 2 shown]
	v_mad_u64_u32 v[26:27], s[14:15], s30, v29, 0
	v_lshlrev_b64 v[18:19], 3, v[18:19]
	v_lshlrev_b64 v[46:47], 3, v[22:23]
	v_mov_b32_e32 v28, v27
	v_add_co_u32_e32 v22, vcc, v18, v46
	v_mad_u64_u32 v[28:29], s[14:15], s31, v29, v[28:29]
	v_addc_co_u32_e32 v23, vcc, v19, v47, vcc
	v_lshlrev_b64 v[48:49], 3, v[24:25]
	v_mov_b32_e32 v27, v28
	v_mad_u64_u32 v[28:29], s[14:15], s30, v31, 0
	v_add_co_u32_e32 v24, vcc, v48, v18
	v_mov_b32_e32 v30, v29
	v_addc_co_u32_e32 v25, vcc, v49, v19, vcc
	v_lshlrev_b64 v[50:51], 3, v[26:27]
	v_mad_u64_u32 v[30:31], s[14:15], s31, v31, v[30:31]
	v_add_co_u32_e32 v26, vcc, v18, v50
	v_mov_b32_e32 v29, v30
	v_addc_co_u32_e32 v27, vcc, v19, v51, vcc
	v_lshlrev_b64 v[52:53], 3, v[28:29]
	v_add_co_u32_e32 v28, vcc, v18, v52
	v_addc_co_u32_e32 v29, vcc, v19, v53, vcc
	v_mad_u64_u32 v[18:19], s[14:15], s28, v32, 0
	v_mov_b32_e32 v30, v19
	v_mad_u64_u32 v[30:31], s[14:15], s29, v32, v[30:31]
	v_mov_b32_e32 v19, v30
	v_lshlrev_b64 v[18:19], 3, v[18:19]
	v_add_co_u32_e32 v30, vcc, v18, v46
	v_addc_co_u32_e32 v31, vcc, v19, v47, vcc
	v_add_co_u32_e32 v32, vcc, v18, v48
	v_addc_co_u32_e32 v33, vcc, v19, v49, vcc
	;; [unrolled: 2-line block ×4, first 2 shown]
	v_mad_u64_u32 v[18:19], s[14:15], s28, v39, 0
	v_mov_b32_e32 v38, v19
	v_mad_u64_u32 v[38:39], s[14:15], s29, v39, v[38:39]
	v_mov_b32_e32 v19, v38
	v_lshlrev_b64 v[18:19], 3, v[18:19]
	v_add_co_u32_e32 v38, vcc, v46, v18
	v_addc_co_u32_e32 v39, vcc, v47, v19, vcc
	v_add_co_u32_e32 v40, vcc, v48, v18
	v_addc_co_u32_e32 v41, vcc, v49, v19, vcc
	;; [unrolled: 2-line block ×4, first 2 shown]
	v_mad_u64_u32 v[18:19], s[14:15], s28, v55, 0
	v_mov_b32_e32 v54, v19
	v_mad_u64_u32 v[54:55], s[14:15], s29, v55, v[54:55]
	v_mov_b32_e32 v19, v54
	v_lshlrev_b64 v[18:19], 3, v[18:19]
	v_add_co_u32_e32 v46, vcc, v46, v18
	v_addc_co_u32_e32 v47, vcc, v47, v19, vcc
	v_add_co_u32_e32 v48, vcc, v48, v18
	s_load_dwordx2 s[0:1], s[4:5], 0x20
	v_addc_co_u32_e32 v49, vcc, v49, v19, vcc
	v_add_co_u32_e32 v50, vcc, v18, v50
	v_addc_co_u32_e32 v51, vcc, v19, v51, vcc
	v_add_co_u32_e32 v52, vcc, v18, v52
	s_mov_b32 s9, 0
	s_lshl_b64 s[6:7], s[24:25], 3
	s_lshl_b64 s[12:13], s[26:27], 3
	v_addc_co_u32_e32 v53, vcc, v19, v53, vcc
	s_lshl_b64 s[14:15], s[16:17], 3
	s_lshl_b64 s[16:17], s[18:19], 3
	s_branch .LBB8_5
.LBB8_4:                                ;   in Loop: Header=BB8_5 Depth=1
	s_add_i32 s9, s9, 1
	s_add_u32 s0, s0, s6
	s_addc_u32 s1, s1, s7
	v_mov_b32_e32 v18, s15
	v_add_co_u32_e32 v16, vcc, s14, v16
	s_cmp_eq_u32 s9, s8
	v_addc_co_u32_e32 v17, vcc, v17, v18, vcc
	s_cbranch_scc1 .LBB8_7
.LBB8_5:                                ; =>This Loop Header: Depth=1
                                        ;     Child Loop BB8_6 Depth 2
	s_andn2_b64 vcc, exec, s[2:3]
	v_pk_mov_b32 v[18:19], v[16:17], v[16:17] op_sel:[0,1]
	s_waitcnt lgkmcnt(0)
	s_mov_b64 s[18:19], s[0:1]
	s_mov_b32 s11, s10
	s_cbranch_vccnz .LBB8_4
.LBB8_6:                                ;   Parent Loop BB8_5 Depth=1
                                        ; =>  This Inner Loop Header: Depth=2
	global_load_dwordx2 v[56:57], v[18:19], off
	v_mov_b32_e32 v62, s19
	v_add_co_u32_e32 v54, vcc, s18, v22
	v_addc_co_u32_e32 v55, vcc, v62, v23, vcc
	s_add_i32 s11, s11, -1
	s_waitcnt vmcnt(0)
	v_mul_f64 v[58:59], v[56:57], v[10:11]
	v_mul_f64 v[60:61], v[58:59], v[2:3]
	global_atomic_add_f64 v[54:55], v[60:61], off
	v_add_co_u32_e32 v54, vcc, s18, v24
	v_addc_co_u32_e32 v55, vcc, v62, v25, vcc
	v_mul_f64 v[60:61], v[58:59], v[4:5]
	global_atomic_add_f64 v[54:55], v[60:61], off
	v_add_co_u32_e32 v54, vcc, s18, v26
	v_addc_co_u32_e32 v55, vcc, v62, v27, vcc
	v_mul_f64 v[60:61], v[58:59], v[6:7]
	global_atomic_add_f64 v[54:55], v[60:61], off
	v_add_co_u32_e32 v54, vcc, s18, v28
	v_addc_co_u32_e32 v55, vcc, v62, v29, vcc
	v_mul_f64 v[58:59], v[58:59], v[8:9]
	global_atomic_add_f64 v[54:55], v[58:59], off
	v_add_co_u32_e32 v54, vcc, s18, v30
	v_mul_f64 v[58:59], v[56:57], v[12:13]
	v_addc_co_u32_e32 v55, vcc, v62, v31, vcc
	v_mul_f64 v[60:61], v[58:59], v[2:3]
	global_atomic_add_f64 v[54:55], v[60:61], off
	v_add_co_u32_e32 v54, vcc, s18, v32
	v_addc_co_u32_e32 v55, vcc, v62, v33, vcc
	v_mul_f64 v[60:61], v[58:59], v[4:5]
	global_atomic_add_f64 v[54:55], v[60:61], off
	v_add_co_u32_e32 v54, vcc, s18, v34
	v_addc_co_u32_e32 v55, vcc, v62, v35, vcc
	v_mul_f64 v[60:61], v[58:59], v[6:7]
	global_atomic_add_f64 v[54:55], v[60:61], off
	v_add_co_u32_e32 v54, vcc, s18, v36
	v_addc_co_u32_e32 v55, vcc, v62, v37, vcc
	v_mul_f64 v[58:59], v[58:59], v[8:9]
	global_atomic_add_f64 v[54:55], v[58:59], off
	v_add_co_u32_e32 v54, vcc, s18, v38
	v_mul_f64 v[58:59], v[56:57], v[14:15]
	v_addc_co_u32_e32 v55, vcc, v62, v39, vcc
	v_mul_f64 v[60:61], v[58:59], v[2:3]
	global_atomic_add_f64 v[54:55], v[60:61], off
	v_add_co_u32_e32 v54, vcc, s18, v40
	v_addc_co_u32_e32 v55, vcc, v62, v41, vcc
	v_mul_f64 v[60:61], v[58:59], v[4:5]
	global_atomic_add_f64 v[54:55], v[60:61], off
	v_add_co_u32_e32 v54, vcc, s18, v42
	v_addc_co_u32_e32 v55, vcc, v62, v43, vcc
	v_mul_f64 v[60:61], v[58:59], v[6:7]
	global_atomic_add_f64 v[54:55], v[60:61], off
	v_add_co_u32_e32 v54, vcc, s18, v44
	v_addc_co_u32_e32 v55, vcc, v62, v45, vcc
	v_mul_f64 v[58:59], v[58:59], v[8:9]
	global_atomic_add_f64 v[54:55], v[58:59], off
	v_add_co_u32_e32 v54, vcc, s18, v46
	v_mul_f64 v[56:57], v[56:57], v[0:1]
	v_addc_co_u32_e32 v55, vcc, v62, v47, vcc
	v_mul_f64 v[58:59], v[56:57], v[2:3]
	global_atomic_add_f64 v[54:55], v[58:59], off
	v_add_co_u32_e32 v54, vcc, s18, v48
	v_addc_co_u32_e32 v55, vcc, v62, v49, vcc
	v_mul_f64 v[58:59], v[56:57], v[4:5]
	global_atomic_add_f64 v[54:55], v[58:59], off
	v_add_co_u32_e32 v54, vcc, s18, v50
	v_addc_co_u32_e32 v55, vcc, v62, v51, vcc
	;; [unrolled: 4-line block ×3, first 2 shown]
	v_mul_f64 v[56:57], v[56:57], v[8:9]
	global_atomic_add_f64 v[54:55], v[56:57], off
	s_add_u32 s18, s18, s12
	v_mov_b32_e32 v54, s17
	v_add_co_u32_e32 v18, vcc, s16, v18
	s_addc_u32 s19, s19, s13
	s_cmp_eq_u32 s11, 0
	v_addc_co_u32_e32 v19, vcc, v19, v54, vcc
	s_cbranch_scc0 .LBB8_6
	s_branch .LBB8_4
.LBB8_7:
	s_mov_b64 s[0:1], 0
.LBB8_8:
	s_andn2_b64 vcc, exec, s[0:1]
	s_cbranch_vccnz .LBB8_14
; %bb.9:
	s_cmp_lt_i32 s8, 1
	s_cbranch_scc1 .LBB8_14
; %bb.10:
	s_load_dwordx8 s[12:19], s[4:5], 0x90
	s_load_dwordx2 s[0:1], s[4:5], 0x20
	s_load_dwordx8 s[20:27], s[4:5], 0x48
	s_load_dwordx2 s[2:3], s[4:5], 0x68
	v_ashrrev_i32_e32 v2, 31, v21
	s_waitcnt lgkmcnt(0)
	v_mul_lo_u32 v3, s17, v21
	v_mul_lo_u32 v4, s16, v2
	v_mad_u64_u32 v[0:1], s[4:5], s16, v21, 0
	v_add3_u32 v1, v1, v4, v3
	v_lshlrev_b64 v[0:1], 3, v[0:1]
	v_mov_b32_e32 v3, s3
	v_add_co_u32_e32 v4, vcc, s2, v0
	v_ashrrev_i32_e32 v5, 31, v20
	v_addc_co_u32_e32 v3, vcc, v3, v1, vcc
	v_mul_lo_u32 v6, s19, v20
	v_mul_lo_u32 v7, s18, v5
	v_mad_u64_u32 v[0:1], s[2:3], s18, v20, 0
	v_add3_u32 v1, v1, v7, v6
	v_lshlrev_b64 v[0:1], 3, v[0:1]
	v_add_co_u32_e32 v0, vcc, v4, v0
	v_addc_co_u32_e32 v1, vcc, v3, v1, vcc
	v_mul_lo_u32 v4, s25, v21
	v_mul_lo_u32 v6, s24, v2
	v_mad_u64_u32 v[2:3], s[2:3], s24, v21, 0
	v_add3_u32 v3, v3, v6, v4
	v_lshlrev_b64 v[2:3], 3, v[2:3]
	v_mov_b32_e32 v4, s1
	v_add_co_u32_e32 v6, vcc, s0, v2
	v_addc_co_u32_e32 v4, vcc, v4, v3, vcc
	v_mul_lo_u32 v7, s27, v20
	v_mul_lo_u32 v5, s26, v5
	v_mad_u64_u32 v[2:3], s[0:1], s26, v20, 0
	v_add3_u32 v3, v3, v5, v7
	s_cmp_gt_i32 s10, 0
	v_lshlrev_b64 v[2:3], 3, v[2:3]
	v_add_co_u32_e32 v2, vcc, v6, v2
	s_cselect_b64 s[0:1], -1, 0
	v_addc_co_u32_e32 v3, vcc, v4, v3, vcc
	s_lshl_b64 s[2:3], s[20:21], 3
	s_lshl_b64 s[6:7], s[12:13], 3
	v_cndmask_b32_e64 v4, 0, 1, s[0:1]
	s_mov_b32 s9, 0
	s_lshl_b64 s[4:5], s[22:23], 3
	s_lshl_b64 s[12:13], s[14:15], 3
	v_cmp_ne_u32_e64 s[0:1], 1, v4
	v_mov_b32_e32 v8, s3
	v_mov_b32_e32 v9, s7
	s_branch .LBB8_12
.LBB8_11:                               ;   in Loop: Header=BB8_12 Depth=1
	v_add_co_u32_e32 v2, vcc, s2, v2
	v_addc_co_u32_e32 v3, vcc, v3, v8, vcc
	s_add_i32 s9, s9, 1
	v_add_co_u32_e32 v0, vcc, s6, v0
	s_cmp_eq_u32 s9, s8
	v_addc_co_u32_e32 v1, vcc, v1, v9, vcc
	s_cbranch_scc1 .LBB8_14
.LBB8_12:                               ; =>This Loop Header: Depth=1
                                        ;     Child Loop BB8_13 Depth 2
	s_and_b64 vcc, exec, s[0:1]
	v_pk_mov_b32 v[4:5], v[0:1], v[0:1] op_sel:[0,1]
	v_pk_mov_b32 v[6:7], v[2:3], v[2:3] op_sel:[0,1]
	s_mov_b32 s3, s10
	s_cbranch_vccnz .LBB8_11
.LBB8_13:                               ;   Parent Loop BB8_12 Depth=1
                                        ; =>  This Inner Loop Header: Depth=2
	global_load_dwordx2 v[10:11], v[4:5], off
	v_mov_b32_e32 v13, s13
	v_add_co_u32_e32 v4, vcc, s12, v4
	v_addc_co_u32_e32 v5, vcc, v5, v13, vcc
	s_add_i32 s3, s3, -1
	v_mov_b32_e32 v12, s5
	s_cmp_eq_u32 s3, 0
	s_waitcnt vmcnt(0)
	global_store_dwordx2 v[6:7], v[10:11], off
	v_add_co_u32_e32 v6, vcc, s4, v6
	v_addc_co_u32_e32 v7, vcc, v7, v12, vcc
	s_cbranch_scc0 .LBB8_13
	s_branch .LBB8_11
.LBB8_14:
	s_endpgm
	.section	.rodata,"a",@progbits
	.p2align	6, 0x0
	.amdhsa_kernel _ZN2at6native12_GLOBAL__N_137upsample_bicubic2d_backward_out_frameIddEEviT0_S3_bN5torch10headeronly6detail27GenericPackedTensorAccessorINS6_14TensorAccessorIN3c108ArrayRefIlEET_Lm3ENS5_16DefaultPtrTraitsElEENS_6detail16IndexBoundsCheckILm4ElEESC_Lm4ESD_lEENS7_INS8_ISB_KSC_Lm3ESD_lEESH_SJ_Lm4ESD_lEE
		.amdhsa_group_segment_fixed_size 0
		.amdhsa_private_segment_fixed_size 0
		.amdhsa_kernarg_size 432
		.amdhsa_user_sgpr_count 6
		.amdhsa_user_sgpr_private_segment_buffer 1
		.amdhsa_user_sgpr_dispatch_ptr 0
		.amdhsa_user_sgpr_queue_ptr 0
		.amdhsa_user_sgpr_kernarg_segment_ptr 1
		.amdhsa_user_sgpr_dispatch_id 0
		.amdhsa_user_sgpr_flat_scratch_init 0
		.amdhsa_user_sgpr_kernarg_preload_length 0
		.amdhsa_user_sgpr_kernarg_preload_offset 0
		.amdhsa_user_sgpr_private_segment_size 0
		.amdhsa_uses_dynamic_stack 0
		.amdhsa_system_sgpr_private_segment_wavefront_offset 0
		.amdhsa_system_sgpr_workgroup_id_x 1
		.amdhsa_system_sgpr_workgroup_id_y 0
		.amdhsa_system_sgpr_workgroup_id_z 0
		.amdhsa_system_sgpr_workgroup_info 0
		.amdhsa_system_vgpr_workitem_id 0
		.amdhsa_next_free_vgpr 63
		.amdhsa_next_free_sgpr 32
		.amdhsa_accum_offset 64
		.amdhsa_reserve_vcc 1
		.amdhsa_reserve_flat_scratch 0
		.amdhsa_float_round_mode_32 0
		.amdhsa_float_round_mode_16_64 0
		.amdhsa_float_denorm_mode_32 3
		.amdhsa_float_denorm_mode_16_64 3
		.amdhsa_dx10_clamp 1
		.amdhsa_ieee_mode 1
		.amdhsa_fp16_overflow 0
		.amdhsa_tg_split 0
		.amdhsa_exception_fp_ieee_invalid_op 0
		.amdhsa_exception_fp_denorm_src 0
		.amdhsa_exception_fp_ieee_div_zero 0
		.amdhsa_exception_fp_ieee_overflow 0
		.amdhsa_exception_fp_ieee_underflow 0
		.amdhsa_exception_fp_ieee_inexact 0
		.amdhsa_exception_int_div_zero 0
	.end_amdhsa_kernel
	.section	.text._ZN2at6native12_GLOBAL__N_137upsample_bicubic2d_backward_out_frameIddEEviT0_S3_bN5torch10headeronly6detail27GenericPackedTensorAccessorINS6_14TensorAccessorIN3c108ArrayRefIlEET_Lm3ENS5_16DefaultPtrTraitsElEENS_6detail16IndexBoundsCheckILm4ElEESC_Lm4ESD_lEENS7_INS8_ISB_KSC_Lm3ESD_lEESH_SJ_Lm4ESD_lEE,"axG",@progbits,_ZN2at6native12_GLOBAL__N_137upsample_bicubic2d_backward_out_frameIddEEviT0_S3_bN5torch10headeronly6detail27GenericPackedTensorAccessorINS6_14TensorAccessorIN3c108ArrayRefIlEET_Lm3ENS5_16DefaultPtrTraitsElEENS_6detail16IndexBoundsCheckILm4ElEESC_Lm4ESD_lEENS7_INS8_ISB_KSC_Lm3ESD_lEESH_SJ_Lm4ESD_lEE,comdat
.Lfunc_end8:
	.size	_ZN2at6native12_GLOBAL__N_137upsample_bicubic2d_backward_out_frameIddEEviT0_S3_bN5torch10headeronly6detail27GenericPackedTensorAccessorINS6_14TensorAccessorIN3c108ArrayRefIlEET_Lm3ENS5_16DefaultPtrTraitsElEENS_6detail16IndexBoundsCheckILm4ElEESC_Lm4ESD_lEENS7_INS8_ISB_KSC_Lm3ESD_lEESH_SJ_Lm4ESD_lEE, .Lfunc_end8-_ZN2at6native12_GLOBAL__N_137upsample_bicubic2d_backward_out_frameIddEEviT0_S3_bN5torch10headeronly6detail27GenericPackedTensorAccessorINS6_14TensorAccessorIN3c108ArrayRefIlEET_Lm3ENS5_16DefaultPtrTraitsElEENS_6detail16IndexBoundsCheckILm4ElEESC_Lm4ESD_lEENS7_INS8_ISB_KSC_Lm3ESD_lEESH_SJ_Lm4ESD_lEE
                                        ; -- End function
	.section	.AMDGPU.csdata,"",@progbits
; Kernel info:
; codeLenInByte = 2344
; NumSgprs: 36
; NumVgprs: 63
; NumAgprs: 0
; TotalNumVgprs: 63
; ScratchSize: 0
; MemoryBound: 0
; FloatMode: 240
; IeeeMode: 1
; LDSByteSize: 0 bytes/workgroup (compile time only)
; SGPRBlocks: 4
; VGPRBlocks: 7
; NumSGPRsForWavesPerEU: 36
; NumVGPRsForWavesPerEU: 63
; AccumOffset: 64
; Occupancy: 8
; WaveLimiterHint : 1
; COMPUTE_PGM_RSRC2:SCRATCH_EN: 0
; COMPUTE_PGM_RSRC2:USER_SGPR: 6
; COMPUTE_PGM_RSRC2:TRAP_HANDLER: 0
; COMPUTE_PGM_RSRC2:TGID_X_EN: 1
; COMPUTE_PGM_RSRC2:TGID_Y_EN: 0
; COMPUTE_PGM_RSRC2:TGID_Z_EN: 0
; COMPUTE_PGM_RSRC2:TIDIG_COMP_CNT: 0
; COMPUTE_PGM_RSRC3_GFX90A:ACCUM_OFFSET: 15
; COMPUTE_PGM_RSRC3_GFX90A:TG_SPLIT: 0
	.section	.text._ZN2at6native12_GLOBAL__N_137upsample_bicubic2d_backward_out_frameIffEEviT0_S3_bN5torch10headeronly6detail27GenericPackedTensorAccessorINS6_14TensorAccessorIN3c108ArrayRefIlEET_Lm3ENS5_16DefaultPtrTraitsElEENS_6detail16IndexBoundsCheckILm4ElEESC_Lm4ESD_lEENS7_INS8_ISB_KSC_Lm3ESD_lEESH_SJ_Lm4ESD_lEE,"axG",@progbits,_ZN2at6native12_GLOBAL__N_137upsample_bicubic2d_backward_out_frameIffEEviT0_S3_bN5torch10headeronly6detail27GenericPackedTensorAccessorINS6_14TensorAccessorIN3c108ArrayRefIlEET_Lm3ENS5_16DefaultPtrTraitsElEENS_6detail16IndexBoundsCheckILm4ElEESC_Lm4ESD_lEENS7_INS8_ISB_KSC_Lm3ESD_lEESH_SJ_Lm4ESD_lEE,comdat
	.globl	_ZN2at6native12_GLOBAL__N_137upsample_bicubic2d_backward_out_frameIffEEviT0_S3_bN5torch10headeronly6detail27GenericPackedTensorAccessorINS6_14TensorAccessorIN3c108ArrayRefIlEET_Lm3ENS5_16DefaultPtrTraitsElEENS_6detail16IndexBoundsCheckILm4ElEESC_Lm4ESD_lEENS7_INS8_ISB_KSC_Lm3ESD_lEESH_SJ_Lm4ESD_lEE ; -- Begin function _ZN2at6native12_GLOBAL__N_137upsample_bicubic2d_backward_out_frameIffEEviT0_S3_bN5torch10headeronly6detail27GenericPackedTensorAccessorINS6_14TensorAccessorIN3c108ArrayRefIlEET_Lm3ENS5_16DefaultPtrTraitsElEENS_6detail16IndexBoundsCheckILm4ElEESC_Lm4ESD_lEENS7_INS8_ISB_KSC_Lm3ESD_lEESH_SJ_Lm4ESD_lEE
	.p2align	8
	.type	_ZN2at6native12_GLOBAL__N_137upsample_bicubic2d_backward_out_frameIffEEviT0_S3_bN5torch10headeronly6detail27GenericPackedTensorAccessorINS6_14TensorAccessorIN3c108ArrayRefIlEET_Lm3ENS5_16DefaultPtrTraitsElEENS_6detail16IndexBoundsCheckILm4ElEESC_Lm4ESD_lEENS7_INS8_ISB_KSC_Lm3ESD_lEESH_SJ_Lm4ESD_lEE,@function
_ZN2at6native12_GLOBAL__N_137upsample_bicubic2d_backward_out_frameIffEEviT0_S3_bN5torch10headeronly6detail27GenericPackedTensorAccessorINS6_14TensorAccessorIN3c108ArrayRefIlEET_Lm3ENS5_16DefaultPtrTraitsElEENS_6detail16IndexBoundsCheckILm4ElEESC_Lm4ESD_lEENS7_INS8_ISB_KSC_Lm3ESD_lEESH_SJ_Lm4ESD_lEE: ; @_ZN2at6native12_GLOBAL__N_137upsample_bicubic2d_backward_out_frameIffEEviT0_S3_bN5torch10headeronly6detail27GenericPackedTensorAccessorINS6_14TensorAccessorIN3c108ArrayRefIlEET_Lm3ENS5_16DefaultPtrTraitsElEENS_6detail16IndexBoundsCheckILm4ElEESC_Lm4ESD_lEENS7_INS8_ISB_KSC_Lm3ESD_lEESH_SJ_Lm4ESD_lEE
; %bb.0:
	s_load_dword s7, s[4:5], 0xac
	s_load_dwordx4 s[0:3], s[4:5], 0x0
	s_waitcnt lgkmcnt(0)
	s_and_b32 s7, s7, 0xffff
	s_mul_i32 s6, s6, s7
	v_add_u32_e32 v0, s6, v0
	v_cmp_gt_i32_e32 vcc, s0, v0
	s_and_saveexec_b64 s[6:7], vcc
	s_cbranch_execz .LBB9_14
; %bb.1:
	s_load_dwordx4 s[16:19], s[4:5], 0x70
	s_load_dwordx8 s[8:15], s[4:5], 0x18
	v_sub_u32_e32 v2, 0, v0
	v_max_i32_e32 v2, v0, v2
	s_waitcnt lgkmcnt(0)
	s_abs_i32 s0, s18
	v_cvt_f32_u32_e32 v1, s0
	s_sub_i32 s9, 0, s0
	v_xor_b32_e32 v3, s18, v0
	v_ashrrev_i32_e32 v3, 31, v3
	v_rcp_iflag_f32_e32 v1, v1
	s_cmp_lg_u32 s12, s16
	s_cselect_b64 s[6:7], -1, 0
	s_cmp_lg_u32 s14, s18
	v_mul_f32_e32 v1, 0x4f7ffffe, v1
	v_cvt_u32_f32_e32 v1, v1
	s_cselect_b64 s[16:17], -1, 0
	s_or_b64 s[16:17], s[16:17], s[6:7]
	s_mov_b64 s[6:7], -1
	v_mul_lo_u32 v4, s9, v1
	v_mul_hi_u32 v4, v1, v4
	v_add_u32_e32 v1, v1, v4
	v_mul_hi_u32 v1, v2, v1
	v_mul_lo_u32 v4, v1, s0
	v_sub_u32_e32 v2, v2, v4
	v_add_u32_e32 v5, 1, v1
	v_cmp_le_u32_e32 vcc, s0, v2
	v_subrev_u32_e32 v4, s0, v2
	v_cndmask_b32_e32 v1, v1, v5, vcc
	v_cndmask_b32_e32 v2, v2, v4, vcc
	v_add_u32_e32 v4, 1, v1
	v_cmp_le_u32_e32 vcc, s0, v2
	v_cndmask_b32_e32 v1, v1, v4, vcc
	v_xor_b32_e32 v1, v1, v3
	v_sub_u32_e32 v5, v1, v3
	v_mul_lo_u32 v1, v5, s18
	v_sub_u32_e32 v4, v0, v1
	s_and_b64 vcc, exec, s[16:17]
	s_cbranch_vccz .LBB9_8
; %bb.2:
	s_cmp_lt_i32 s8, 1
	s_cbranch_scc1 .LBB9_7
; %bb.3:
	v_cvt_f32_i32_e32 v0, v4
	v_cvt_f32_i32_e32 v1, v5
	s_bitcmp1_b32 s3, 0
	s_cselect_b64 vcc, -1, 0
	v_mul_f32_e32 v2, s2, v0
	v_add_f32_e32 v0, 0.5, v0
	v_fma_f32 v0, v0, s2, -0.5
	v_mul_f32_e32 v3, s1, v1
	v_add_f32_e32 v1, 0.5, v1
	v_cndmask_b32_e32 v0, v0, v2, vcc
	v_fma_f32 v1, v1, s1, -0.5
	v_floor_f32_e32 v2, v0
	v_cndmask_b32_e32 v1, v1, v3, vcc
	v_cvt_i32_f32_e32 v2, v2
	v_floor_f32_e32 v3, v1
	v_cvt_i32_f32_e32 v3, v3
	v_mov_b32_e32 v15, 0xc0c00000
	v_cvt_f32_i32_e32 v6, v2
	v_mov_b32_e32 v9, 0xc0100000
	v_cvt_f32_i32_e32 v7, v3
	v_mov_b32_e32 v10, 0x40700000
	v_sub_f32_e32 v0, v0, v6
	v_mov_b32_e32 v6, 0x40700000
	v_sub_f32_e32 v1, v1, v7
	v_add_f32_e32 v7, 1.0, v0
	v_fmac_f32_e32 v6, 0xbf400000, v7
	v_fma_f32 v8, v7, v6, v15
	v_mov_b32_e32 v6, 0x40400000
	v_fma_f32 v7, v7, v8, v6
	v_mov_b32_e32 v8, 0xc0100000
	v_fmac_f32_e32 v8, 0x3fa00000, v0
	v_mul_f32_e32 v8, v0, v8
	v_fma_f32 v8, v0, v8, 1.0
	v_sub_f32_e32 v0, 1.0, v0
	v_fmac_f32_e32 v9, 0x3fa00000, v0
	v_mul_f32_e32 v9, v0, v9
	v_fma_f32 v9, v0, v9, 1.0
	v_add_f32_e32 v0, 1.0, v0
	v_fmac_f32_e32 v10, 0xbf400000, v0
	v_fma_f32 v10, v0, v10, v15
	v_fma_f32 v10, v0, v10, v6
	v_add_f32_e32 v0, 1.0, v1
	v_mov_b32_e32 v11, 0x40700000
	v_fmac_f32_e32 v11, 0xbf400000, v0
	v_fma_f32 v11, v0, v11, v15
	v_fma_f32 v11, v0, v11, v6
	v_mov_b32_e32 v0, 0xc0100000
	v_fmac_f32_e32 v0, 0x3fa00000, v1
	v_mul_f32_e32 v0, v1, v0
	v_mov_b32_e32 v13, 0xc0100000
	v_fma_f32 v12, v1, v0, 1.0
	v_sub_f32_e32 v0, 1.0, v1
	v_fmac_f32_e32 v13, 0x3fa00000, v0
	v_mul_f32_e32 v1, v0, v13
	s_load_dwordx8 s[16:23], s[4:5], 0x80
	v_mov_b32_e32 v14, 0x40700000
	v_fma_f32 v13, v0, v1, 1.0
	v_add_f32_e32 v0, 1.0, v0
	v_fmac_f32_e32 v14, 0xbf400000, v0
	s_cmp_gt_i32 s10, 0
	v_fmac_f32_e32 v15, v0, v14
	s_cselect_b64 s[34:35], -1, 0
	s_add_i32 s6, s12, -1
	s_load_dwordx2 s[12:13], s[4:5], 0x10
	s_load_dwordx8 s[24:31], s[4:5], 0x38
	s_load_dwordx2 s[0:1], s[4:5], 0x58
	v_fmac_f32_e32 v6, v0, v15
	v_ashrrev_i32_e32 v0, 31, v5
	s_waitcnt lgkmcnt(0)
	v_mul_lo_u32 v17, s21, v5
	v_mul_lo_u32 v18, s20, v0
	v_mad_u64_u32 v[0:1], s[2:3], s20, v5, 0
	v_add3_u32 v1, v1, v18, v17
	v_lshlrev_b64 v[0:1], 2, v[0:1]
	v_ashrrev_i32_e32 v14, 31, v4
	v_mov_b32_e32 v17, s1
	v_add_co_u32_e32 v18, vcc, s0, v0
	v_add_u32_e32 v15, -1, v3
	v_addc_co_u32_e32 v17, vcc, v17, v1, vcc
	v_mul_lo_u32 v19, s23, v4
	v_mul_lo_u32 v14, s22, v14
	v_mad_u64_u32 v[0:1], s[0:1], s22, v4, 0
	v_add_u32_e32 v16, -1, v2
	s_add_i32 s7, s14, -1
	v_add3_u32 v1, v1, v14, v19
	v_min_i32_e32 v14, s6, v15
	v_max_i32_e32 v47, 0, v14
	v_min_i32_e32 v14, s7, v16
	v_max_i32_e32 v23, 0, v14
	v_min_i32_e32 v14, s7, v2
	v_lshlrev_b64 v[0:1], 2, v[0:1]
	v_max_i32_e32 v21, 0, v14
	v_add_u32_e32 v14, 1, v2
	v_add_u32_e32 v2, 2, v2
	v_add_co_u32_e32 v0, vcc, v18, v0
	v_min_i32_e32 v2, s7, v2
	v_addc_co_u32_e32 v1, vcc, v17, v1, vcc
	v_max_i32_e32 v17, 0, v2
	v_min_i32_e32 v2, s6, v3
	v_max_i32_e32 v31, 0, v2
	v_add_u32_e32 v2, 1, v3
	v_min_i32_e32 v2, s6, v2
	v_max_i32_e32 v24, 0, v2
	v_add_u32_e32 v2, 2, v3
	v_min_i32_e32 v2, s6, v2
	v_max_i32_e32 v15, 0, v2
	v_min_i32_e32 v14, s7, v14
	v_mad_u64_u32 v[2:3], s[0:1], s28, v15, 0
	v_max_i32_e32 v19, 0, v14
	v_mov_b32_e32 v14, v3
	v_mad_u64_u32 v[14:15], s[0:1], s29, v15, v[14:15]
	v_mov_b32_e32 v3, v14
	v_mad_u64_u32 v[14:15], s[0:1], s30, v17, 0
	;; [unrolled: 2-line block ×6, first 2 shown]
	v_lshlrev_b64 v[2:3], 2, v[2:3]
	v_lshlrev_b64 v[38:39], 2, v[14:15]
	v_mov_b32_e32 v20, v19
	v_add_co_u32_e32 v14, vcc, v2, v38
	v_mad_u64_u32 v[20:21], s[0:1], s31, v21, v[20:21]
	v_addc_co_u32_e32 v15, vcc, v3, v39, vcc
	v_lshlrev_b64 v[40:41], 2, v[16:17]
	v_mov_b32_e32 v19, v20
	v_mad_u64_u32 v[20:21], s[0:1], s30, v23, 0
	v_add_co_u32_e32 v16, vcc, v2, v40
	v_mov_b32_e32 v22, v21
	v_addc_co_u32_e32 v17, vcc, v3, v41, vcc
	v_lshlrev_b64 v[42:43], 2, v[18:19]
	v_mad_u64_u32 v[22:23], s[0:1], s31, v23, v[22:23]
	v_add_co_u32_e32 v18, vcc, v42, v2
	v_mov_b32_e32 v21, v22
	v_addc_co_u32_e32 v19, vcc, v43, v3, vcc
	v_lshlrev_b64 v[44:45], 2, v[20:21]
	v_add_co_u32_e32 v20, vcc, v44, v2
	v_addc_co_u32_e32 v21, vcc, v45, v3, vcc
	v_mad_u64_u32 v[2:3], s[0:1], s28, v24, 0
	v_mov_b32_e32 v22, v3
	v_mad_u64_u32 v[22:23], s[0:1], s29, v24, v[22:23]
	v_mov_b32_e32 v3, v22
	v_lshlrev_b64 v[2:3], 2, v[2:3]
	v_add_co_u32_e32 v22, vcc, v38, v2
	v_addc_co_u32_e32 v23, vcc, v39, v3, vcc
	v_add_co_u32_e32 v24, vcc, v2, v40
	v_addc_co_u32_e32 v25, vcc, v3, v41, vcc
	v_add_co_u32_e32 v26, vcc, v42, v2
	v_addc_co_u32_e32 v27, vcc, v43, v3, vcc
	v_add_co_u32_e32 v28, vcc, v44, v2
	v_addc_co_u32_e32 v29, vcc, v45, v3, vcc
	v_mad_u64_u32 v[2:3], s[0:1], s28, v31, 0
	v_mov_b32_e32 v30, v3
	v_mad_u64_u32 v[30:31], s[0:1], s29, v31, v[30:31]
	v_mov_b32_e32 v3, v30
	v_lshlrev_b64 v[2:3], 2, v[2:3]
	v_add_co_u32_e32 v30, vcc, v2, v38
	v_addc_co_u32_e32 v31, vcc, v3, v39, vcc
	v_add_co_u32_e32 v32, vcc, v2, v40
	v_addc_co_u32_e32 v33, vcc, v3, v41, vcc
	v_add_co_u32_e32 v34, vcc, v2, v42
	v_addc_co_u32_e32 v35, vcc, v3, v43, vcc
	;; [unrolled: 13-line block ×3, first 2 shown]
	v_add_co_u32_e32 v44, vcc, v2, v44
	s_mov_b32 s9, 0
	s_lshl_b64 s[14:15], s[24:25], 2
	s_lshl_b64 s[20:21], s[26:27], 2
	v_addc_co_u32_e32 v45, vcc, v3, v45, vcc
	s_lshl_b64 s[16:17], s[16:17], 2
	s_lshl_b64 s[18:19], s[18:19], 2
	s_branch .LBB9_5
.LBB9_4:                                ;   in Loop: Header=BB9_5 Depth=1
	s_add_i32 s9, s9, 1
	s_add_u32 s12, s12, s14
	s_addc_u32 s13, s13, s15
	v_mov_b32_e32 v2, s17
	v_add_co_u32_e32 v0, vcc, s16, v0
	s_cmp_eq_u32 s9, s8
	v_addc_co_u32_e32 v1, vcc, v1, v2, vcc
	s_cbranch_scc1 .LBB9_7
.LBB9_5:                                ; =>This Loop Header: Depth=1
                                        ;     Child Loop BB9_6 Depth 2
	s_andn2_b64 vcc, exec, s[34:35]
	v_pk_mov_b32 v[2:3], v[0:1], v[0:1] op_sel:[0,1]
	s_mov_b64 s[22:23], s[12:13]
	s_mov_b32 s11, s10
	s_cbranch_vccnz .LBB9_4
.LBB9_6:                                ;   Parent Loop BB9_5 Depth=1
                                        ; =>  This Inner Loop Header: Depth=2
	global_load_dword v54, v[2:3], off
	v_mov_b32_e32 v55, s23
	v_add_co_u32_e64 v50, s[2:3], s22, v44
	v_addc_co_u32_e64 v51, s[2:3], v55, v45, s[2:3]
	v_add_co_u32_e64 v52, s[6:7], s22, v36
	v_add_co_u32_e32 v46, vcc, s22, v24
	v_add_co_u32_e64 v48, s[0:1], s22, v22
	s_add_i32 s11, s11, -1
	s_waitcnt vmcnt(0)
	v_mul_f32_e32 v47, v54, v11
	v_mul_f32_e32 v49, v47, v7
	global_atomic_add_f32 v[50:51], v49, off
	v_add_co_u32_e64 v50, s[2:3], s22, v42
	v_addc_co_u32_e64 v51, s[2:3], v55, v43, s[2:3]
	v_mul_f32_e32 v49, v47, v8
	global_atomic_add_f32 v[50:51], v49, off
	v_add_co_u32_e64 v50, s[2:3], s22, v40
	v_addc_co_u32_e64 v51, s[2:3], v55, v41, s[2:3]
	;; [unrolled: 4-line block ×3, first 2 shown]
	v_mul_f32_e32 v47, v47, v10
	v_addc_co_u32_e64 v53, s[2:3], v55, v37, s[6:7]
	global_atomic_add_f32 v[50:51], v47, off
	v_mul_f32_e32 v47, v54, v12
	v_mul_f32_e32 v49, v47, v7
	v_add_co_u32_e64 v50, s[2:3], s22, v34
	global_atomic_add_f32 v[52:53], v49, off
	v_addc_co_u32_e64 v51, s[2:3], v55, v35, s[2:3]
	v_mul_f32_e32 v49, v47, v8
	global_atomic_add_f32 v[50:51], v49, off
	v_add_co_u32_e64 v50, s[2:3], s22, v32
	v_addc_co_u32_e64 v51, s[2:3], v55, v33, s[2:3]
	v_mul_f32_e32 v49, v47, v9
	global_atomic_add_f32 v[50:51], v49, off
	v_add_co_u32_e64 v50, s[2:3], s22, v30
	v_add_co_u32_e64 v52, s[6:7], s22, v28
	v_addc_co_u32_e64 v51, s[2:3], v55, v31, s[2:3]
	v_addc_co_u32_e64 v53, s[2:3], v55, v29, s[6:7]
	v_mul_f32_e32 v47, v47, v10
	v_mul_f32_e32 v56, v54, v13
	global_atomic_add_f32 v[50:51], v47, off
	v_mul_f32_e32 v47, v56, v7
	v_add_co_u32_e64 v50, s[2:3], s22, v26
	global_atomic_add_f32 v[52:53], v47, off
	v_addc_co_u32_e64 v51, s[2:3], v55, v27, s[2:3]
	v_mul_f32_e32 v47, v56, v8
	global_atomic_add_f32 v[50:51], v47, off
	v_addc_co_u32_e32 v47, vcc, v55, v25, vcc
	v_mul_f32_e32 v49, v56, v9
	global_atomic_add_f32 v[46:47], v49, off
	v_addc_co_u32_e64 v49, s[0:1], v55, v23, s[0:1]
	v_mul_f32_e32 v47, v56, v10
	v_add_co_u32_e64 v50, s[2:3], s22, v20
	v_add_co_u32_e32 v46, vcc, s22, v18
	v_add_co_u32_e64 v52, s[6:7], s22, v16
	global_atomic_add_f32 v[48:49], v47, off
	v_add_co_u32_e64 v48, s[0:1], s22, v14
	v_mul_f32_e32 v54, v54, v6
	v_addc_co_u32_e64 v51, s[2:3], v55, v21, s[2:3]
	v_addc_co_u32_e32 v47, vcc, v55, v19, vcc
	v_addc_co_u32_e64 v53, vcc, v55, v17, s[6:7]
	v_addc_co_u32_e64 v49, vcc, v55, v15, s[0:1]
	v_mul_f32_e32 v55, v54, v7
	v_mul_f32_e32 v56, v54, v8
	global_atomic_add_f32 v[50:51], v55, off
	v_mul_f32_e32 v50, v54, v9
	v_mul_f32_e32 v51, v54, v10
	global_atomic_add_f32 v[46:47], v56, off
	global_atomic_add_f32 v[52:53], v50, off
	global_atomic_add_f32 v[48:49], v51, off
	s_add_u32 s22, s22, s20
	v_mov_b32_e32 v46, s19
	v_add_co_u32_e32 v2, vcc, s18, v2
	s_addc_u32 s23, s23, s21
	s_cmp_eq_u32 s11, 0
	v_addc_co_u32_e32 v3, vcc, v3, v46, vcc
	s_cbranch_scc0 .LBB9_6
	s_branch .LBB9_4
.LBB9_7:
	s_mov_b64 s[6:7], 0
.LBB9_8:
	s_andn2_b64 vcc, exec, s[6:7]
	s_cbranch_vccnz .LBB9_14
; %bb.9:
	s_cmp_lt_i32 s8, 1
	s_cbranch_scc1 .LBB9_14
; %bb.10:
	s_load_dwordx8 s[12:19], s[4:5], 0x80
	s_load_dwordx2 s[0:1], s[4:5], 0x10
	s_load_dwordx8 s[20:27], s[4:5], 0x38
	s_load_dwordx2 s[2:3], s[4:5], 0x58
	v_ashrrev_i32_e32 v2, 31, v5
	s_waitcnt lgkmcnt(0)
	v_mul_lo_u32 v3, s17, v5
	v_mul_lo_u32 v6, s16, v2
	v_mad_u64_u32 v[0:1], s[4:5], s16, v5, 0
	v_add3_u32 v1, v1, v6, v3
	v_lshlrev_b64 v[0:1], 2, v[0:1]
	v_mov_b32_e32 v3, s3
	v_add_co_u32_e32 v6, vcc, s2, v0
	v_ashrrev_i32_e32 v7, 31, v4
	v_addc_co_u32_e32 v3, vcc, v3, v1, vcc
	v_mul_lo_u32 v8, s19, v4
	v_mul_lo_u32 v9, s18, v7
	v_mad_u64_u32 v[0:1], s[2:3], s18, v4, 0
	v_add3_u32 v1, v1, v9, v8
	v_lshlrev_b64 v[0:1], 2, v[0:1]
	v_add_co_u32_e32 v0, vcc, v6, v0
	v_addc_co_u32_e32 v1, vcc, v3, v1, vcc
	v_mul_lo_u32 v6, s25, v5
	v_mul_lo_u32 v8, s24, v2
	v_mad_u64_u32 v[2:3], s[2:3], s24, v5, 0
	v_add3_u32 v3, v3, v8, v6
	v_lshlrev_b64 v[2:3], 2, v[2:3]
	v_mov_b32_e32 v5, s1
	v_add_co_u32_e32 v6, vcc, s0, v2
	v_addc_co_u32_e32 v5, vcc, v5, v3, vcc
	v_mul_lo_u32 v8, s27, v4
	v_mul_lo_u32 v7, s26, v7
	v_mad_u64_u32 v[2:3], s[0:1], s26, v4, 0
	s_cmp_gt_i32 s10, 0
	v_add3_u32 v3, v3, v7, v8
	v_lshlrev_b64 v[2:3], 2, v[2:3]
	s_cselect_b64 s[0:1], -1, 0
	v_add_co_u32_e32 v2, vcc, v6, v2
	s_lshl_b64 s[2:3], s[20:21], 2
	s_lshl_b64 s[6:7], s[12:13], 2
	v_cndmask_b32_e64 v4, 0, 1, s[0:1]
	s_mov_b32 s9, 0
	v_addc_co_u32_e32 v3, vcc, v5, v3, vcc
	s_lshl_b64 s[4:5], s[22:23], 2
	s_lshl_b64 s[12:13], s[14:15], 2
	v_cmp_ne_u32_e64 s[0:1], 1, v4
	v_mov_b32_e32 v8, s3
	v_mov_b32_e32 v9, s7
	s_branch .LBB9_12
.LBB9_11:                               ;   in Loop: Header=BB9_12 Depth=1
	v_add_co_u32_e32 v2, vcc, s2, v2
	v_addc_co_u32_e32 v3, vcc, v3, v8, vcc
	s_add_i32 s9, s9, 1
	v_add_co_u32_e32 v0, vcc, s6, v0
	s_cmp_eq_u32 s9, s8
	v_addc_co_u32_e32 v1, vcc, v1, v9, vcc
	s_cbranch_scc1 .LBB9_14
.LBB9_12:                               ; =>This Loop Header: Depth=1
                                        ;     Child Loop BB9_13 Depth 2
	s_and_b64 vcc, exec, s[0:1]
	v_pk_mov_b32 v[4:5], v[0:1], v[0:1] op_sel:[0,1]
	v_pk_mov_b32 v[6:7], v[2:3], v[2:3] op_sel:[0,1]
	s_mov_b32 s3, s10
	s_cbranch_vccnz .LBB9_11
.LBB9_13:                               ;   Parent Loop BB9_12 Depth=1
                                        ; =>  This Inner Loop Header: Depth=2
	global_load_dword v10, v[4:5], off
	v_mov_b32_e32 v12, s13
	v_add_co_u32_e32 v4, vcc, s12, v4
	v_addc_co_u32_e32 v5, vcc, v5, v12, vcc
	s_add_i32 s3, s3, -1
	v_mov_b32_e32 v11, s5
	s_cmp_eq_u32 s3, 0
	s_waitcnt vmcnt(0)
	global_store_dword v[6:7], v10, off
	v_add_co_u32_e32 v6, vcc, s4, v6
	v_addc_co_u32_e32 v7, vcc, v7, v11, vcc
	s_cbranch_scc0 .LBB9_13
	s_branch .LBB9_11
.LBB9_14:
	s_endpgm
	.section	.rodata,"a",@progbits
	.p2align	6, 0x0
	.amdhsa_kernel _ZN2at6native12_GLOBAL__N_137upsample_bicubic2d_backward_out_frameIffEEviT0_S3_bN5torch10headeronly6detail27GenericPackedTensorAccessorINS6_14TensorAccessorIN3c108ArrayRefIlEET_Lm3ENS5_16DefaultPtrTraitsElEENS_6detail16IndexBoundsCheckILm4ElEESC_Lm4ESD_lEENS7_INS8_ISB_KSC_Lm3ESD_lEESH_SJ_Lm4ESD_lEE
		.amdhsa_group_segment_fixed_size 0
		.amdhsa_private_segment_fixed_size 0
		.amdhsa_kernarg_size 416
		.amdhsa_user_sgpr_count 6
		.amdhsa_user_sgpr_private_segment_buffer 1
		.amdhsa_user_sgpr_dispatch_ptr 0
		.amdhsa_user_sgpr_queue_ptr 0
		.amdhsa_user_sgpr_kernarg_segment_ptr 1
		.amdhsa_user_sgpr_dispatch_id 0
		.amdhsa_user_sgpr_flat_scratch_init 0
		.amdhsa_user_sgpr_kernarg_preload_length 0
		.amdhsa_user_sgpr_kernarg_preload_offset 0
		.amdhsa_user_sgpr_private_segment_size 0
		.amdhsa_uses_dynamic_stack 0
		.amdhsa_system_sgpr_private_segment_wavefront_offset 0
		.amdhsa_system_sgpr_workgroup_id_x 1
		.amdhsa_system_sgpr_workgroup_id_y 0
		.amdhsa_system_sgpr_workgroup_id_z 0
		.amdhsa_system_sgpr_workgroup_info 0
		.amdhsa_system_vgpr_workitem_id 0
		.amdhsa_next_free_vgpr 57
		.amdhsa_next_free_sgpr 36
		.amdhsa_accum_offset 60
		.amdhsa_reserve_vcc 1
		.amdhsa_reserve_flat_scratch 0
		.amdhsa_float_round_mode_32 0
		.amdhsa_float_round_mode_16_64 0
		.amdhsa_float_denorm_mode_32 3
		.amdhsa_float_denorm_mode_16_64 3
		.amdhsa_dx10_clamp 1
		.amdhsa_ieee_mode 1
		.amdhsa_fp16_overflow 0
		.amdhsa_tg_split 0
		.amdhsa_exception_fp_ieee_invalid_op 0
		.amdhsa_exception_fp_denorm_src 0
		.amdhsa_exception_fp_ieee_div_zero 0
		.amdhsa_exception_fp_ieee_overflow 0
		.amdhsa_exception_fp_ieee_underflow 0
		.amdhsa_exception_fp_ieee_inexact 0
		.amdhsa_exception_int_div_zero 0
	.end_amdhsa_kernel
	.section	.text._ZN2at6native12_GLOBAL__N_137upsample_bicubic2d_backward_out_frameIffEEviT0_S3_bN5torch10headeronly6detail27GenericPackedTensorAccessorINS6_14TensorAccessorIN3c108ArrayRefIlEET_Lm3ENS5_16DefaultPtrTraitsElEENS_6detail16IndexBoundsCheckILm4ElEESC_Lm4ESD_lEENS7_INS8_ISB_KSC_Lm3ESD_lEESH_SJ_Lm4ESD_lEE,"axG",@progbits,_ZN2at6native12_GLOBAL__N_137upsample_bicubic2d_backward_out_frameIffEEviT0_S3_bN5torch10headeronly6detail27GenericPackedTensorAccessorINS6_14TensorAccessorIN3c108ArrayRefIlEET_Lm3ENS5_16DefaultPtrTraitsElEENS_6detail16IndexBoundsCheckILm4ElEESC_Lm4ESD_lEENS7_INS8_ISB_KSC_Lm3ESD_lEESH_SJ_Lm4ESD_lEE,comdat
.Lfunc_end9:
	.size	_ZN2at6native12_GLOBAL__N_137upsample_bicubic2d_backward_out_frameIffEEviT0_S3_bN5torch10headeronly6detail27GenericPackedTensorAccessorINS6_14TensorAccessorIN3c108ArrayRefIlEET_Lm3ENS5_16DefaultPtrTraitsElEENS_6detail16IndexBoundsCheckILm4ElEESC_Lm4ESD_lEENS7_INS8_ISB_KSC_Lm3ESD_lEESH_SJ_Lm4ESD_lEE, .Lfunc_end9-_ZN2at6native12_GLOBAL__N_137upsample_bicubic2d_backward_out_frameIffEEviT0_S3_bN5torch10headeronly6detail27GenericPackedTensorAccessorINS6_14TensorAccessorIN3c108ArrayRefIlEET_Lm3ENS5_16DefaultPtrTraitsElEENS_6detail16IndexBoundsCheckILm4ElEESC_Lm4ESD_lEENS7_INS8_ISB_KSC_Lm3ESD_lEESH_SJ_Lm4ESD_lEE
                                        ; -- End function
	.section	.AMDGPU.csdata,"",@progbits
; Kernel info:
; codeLenInByte = 2256
; NumSgprs: 40
; NumVgprs: 57
; NumAgprs: 0
; TotalNumVgprs: 57
; ScratchSize: 0
; MemoryBound: 0
; FloatMode: 240
; IeeeMode: 1
; LDSByteSize: 0 bytes/workgroup (compile time only)
; SGPRBlocks: 4
; VGPRBlocks: 7
; NumSGPRsForWavesPerEU: 40
; NumVGPRsForWavesPerEU: 57
; AccumOffset: 60
; Occupancy: 8
; WaveLimiterHint : 1
; COMPUTE_PGM_RSRC2:SCRATCH_EN: 0
; COMPUTE_PGM_RSRC2:USER_SGPR: 6
; COMPUTE_PGM_RSRC2:TRAP_HANDLER: 0
; COMPUTE_PGM_RSRC2:TGID_X_EN: 1
; COMPUTE_PGM_RSRC2:TGID_Y_EN: 0
; COMPUTE_PGM_RSRC2:TGID_Z_EN: 0
; COMPUTE_PGM_RSRC2:TIDIG_COMP_CNT: 0
; COMPUTE_PGM_RSRC3_GFX90A:ACCUM_OFFSET: 14
; COMPUTE_PGM_RSRC3_GFX90A:TG_SPLIT: 0
	.section	.text._ZN2at6native12_GLOBAL__N_137upsample_bicubic2d_backward_out_frameIN3c104HalfEfEEviT0_S5_bN5torch10headeronly6detail27GenericPackedTensorAccessorINS8_14TensorAccessorINS3_8ArrayRefIlEET_Lm3ENS7_16DefaultPtrTraitsElEENS_6detail16IndexBoundsCheckILm4ElEESD_Lm4ESE_lEENS9_INSA_ISC_KSD_Lm3ESE_lEESI_SK_Lm4ESE_lEE,"axG",@progbits,_ZN2at6native12_GLOBAL__N_137upsample_bicubic2d_backward_out_frameIN3c104HalfEfEEviT0_S5_bN5torch10headeronly6detail27GenericPackedTensorAccessorINS8_14TensorAccessorINS3_8ArrayRefIlEET_Lm3ENS7_16DefaultPtrTraitsElEENS_6detail16IndexBoundsCheckILm4ElEESD_Lm4ESE_lEENS9_INSA_ISC_KSD_Lm3ESE_lEESI_SK_Lm4ESE_lEE,comdat
	.globl	_ZN2at6native12_GLOBAL__N_137upsample_bicubic2d_backward_out_frameIN3c104HalfEfEEviT0_S5_bN5torch10headeronly6detail27GenericPackedTensorAccessorINS8_14TensorAccessorINS3_8ArrayRefIlEET_Lm3ENS7_16DefaultPtrTraitsElEENS_6detail16IndexBoundsCheckILm4ElEESD_Lm4ESE_lEENS9_INSA_ISC_KSD_Lm3ESE_lEESI_SK_Lm4ESE_lEE ; -- Begin function _ZN2at6native12_GLOBAL__N_137upsample_bicubic2d_backward_out_frameIN3c104HalfEfEEviT0_S5_bN5torch10headeronly6detail27GenericPackedTensorAccessorINS8_14TensorAccessorINS3_8ArrayRefIlEET_Lm3ENS7_16DefaultPtrTraitsElEENS_6detail16IndexBoundsCheckILm4ElEESD_Lm4ESE_lEENS9_INSA_ISC_KSD_Lm3ESE_lEESI_SK_Lm4ESE_lEE
	.p2align	8
	.type	_ZN2at6native12_GLOBAL__N_137upsample_bicubic2d_backward_out_frameIN3c104HalfEfEEviT0_S5_bN5torch10headeronly6detail27GenericPackedTensorAccessorINS8_14TensorAccessorINS3_8ArrayRefIlEET_Lm3ENS7_16DefaultPtrTraitsElEENS_6detail16IndexBoundsCheckILm4ElEESD_Lm4ESE_lEENS9_INSA_ISC_KSD_Lm3ESE_lEESI_SK_Lm4ESE_lEE,@function
_ZN2at6native12_GLOBAL__N_137upsample_bicubic2d_backward_out_frameIN3c104HalfEfEEviT0_S5_bN5torch10headeronly6detail27GenericPackedTensorAccessorINS8_14TensorAccessorINS3_8ArrayRefIlEET_Lm3ENS7_16DefaultPtrTraitsElEENS_6detail16IndexBoundsCheckILm4ElEESD_Lm4ESE_lEENS9_INSA_ISC_KSD_Lm3ESE_lEESI_SK_Lm4ESE_lEE: ; @_ZN2at6native12_GLOBAL__N_137upsample_bicubic2d_backward_out_frameIN3c104HalfEfEEviT0_S5_bN5torch10headeronly6detail27GenericPackedTensorAccessorINS8_14TensorAccessorINS3_8ArrayRefIlEET_Lm3ENS7_16DefaultPtrTraitsElEENS_6detail16IndexBoundsCheckILm4ElEESD_Lm4ESE_lEENS9_INSA_ISC_KSD_Lm3ESE_lEESI_SK_Lm4ESE_lEE
; %bb.0:
	s_load_dword s7, s[4:5], 0xac
	s_load_dwordx4 s[0:3], s[4:5], 0x0
	s_waitcnt lgkmcnt(0)
	s_and_b32 s7, s7, 0xffff
	s_mul_i32 s6, s6, s7
	v_add_u32_e32 v0, s6, v0
	v_cmp_gt_i32_e32 vcc, s0, v0
	s_and_saveexec_b64 s[6:7], vcc
	s_cbranch_execz .LBB10_41
; %bb.1:
	s_load_dwordx4 s[16:19], s[4:5], 0x70
	s_load_dwordx8 s[8:15], s[4:5], 0x18
	v_sub_u32_e32 v2, 0, v0
	v_max_i32_e32 v2, v0, v2
	s_waitcnt lgkmcnt(0)
	s_abs_i32 s0, s18
	v_cvt_f32_u32_e32 v1, s0
	s_sub_i32 s9, 0, s0
	v_xor_b32_e32 v3, s18, v0
	v_ashrrev_i32_e32 v3, 31, v3
	v_rcp_iflag_f32_e32 v1, v1
	s_cmp_lg_u32 s12, s16
	s_cselect_b64 s[6:7], -1, 0
	s_cmp_lg_u32 s14, s18
	v_mul_f32_e32 v1, 0x4f7ffffe, v1
	v_cvt_u32_f32_e32 v1, v1
	s_cselect_b64 s[16:17], -1, 0
	s_or_b64 s[16:17], s[16:17], s[6:7]
	s_mov_b64 s[6:7], -1
	v_mul_lo_u32 v4, s9, v1
	v_mul_hi_u32 v4, v1, v4
	v_add_u32_e32 v1, v1, v4
	v_mul_hi_u32 v1, v2, v1
	v_mul_lo_u32 v4, v1, s0
	v_sub_u32_e32 v2, v2, v4
	v_add_u32_e32 v5, 1, v1
	v_cmp_le_u32_e32 vcc, s0, v2
	v_subrev_u32_e32 v4, s0, v2
	v_cndmask_b32_e32 v1, v1, v5, vcc
	v_cndmask_b32_e32 v2, v2, v4, vcc
	v_add_u32_e32 v4, 1, v1
	v_cmp_le_u32_e32 vcc, s0, v2
	v_cndmask_b32_e32 v1, v1, v4, vcc
	v_xor_b32_e32 v1, v1, v3
	v_sub_u32_e32 v19, v1, v3
	v_mul_lo_u32 v1, v19, s18
	v_sub_u32_e32 v18, v0, v1
	s_and_b64 vcc, exec, s[16:17]
	s_cbranch_vccz .LBB10_35
; %bb.2:
	s_cmp_lt_i32 s8, 1
	s_cbranch_scc1 .LBB10_34
; %bb.3:
	v_cvt_f32_i32_e32 v0, v18
	s_bitcmp1_b32 s3, 0
	v_cvt_f32_i32_e32 v1, v19
	s_cselect_b64 vcc, -1, 0
	v_mul_f32_e32 v2, s2, v0
	v_add_f32_e32 v0, 0.5, v0
	v_fma_f32 v0, v0, s2, -0.5
	v_cndmask_b32_e32 v0, v0, v2, vcc
	v_floor_f32_e32 v2, v0
	v_cvt_i32_f32_e32 v12, v2
	v_mul_f32_e32 v2, s1, v1
	v_add_f32_e32 v1, 0.5, v1
	v_fma_f32 v1, v1, s1, -0.5
	v_cndmask_b32_e32 v1, v1, v2, vcc
	v_floor_f32_e32 v2, v1
	v_cvt_i32_f32_e32 v6, v2
	v_cvt_f32_i32_e32 v2, v12
	v_mov_b32_e32 v5, 0xc0c00000
	v_mov_b32_e32 v4, 0x40700000
	v_cvt_f32_i32_e32 v3, v6
	v_sub_f32_e32 v0, v0, v2
	s_load_dwordx8 s[16:23], s[4:5], 0x80
	s_load_dwordx2 s[34:35], s[4:5], 0x10
	s_load_dwordx8 s[24:31], s[4:5], 0x38
	s_load_dwordx2 s[0:1], s[4:5], 0x58
	s_cmp_gt_i32 s10, 0
	v_sub_f32_e32 v2, v1, v3
	v_add_f32_e32 v1, 1.0, v0
	v_mov_b32_e32 v3, 0x40700000
	v_fmac_f32_e32 v3, 0xbf400000, v1
	v_fma_f32 v7, v1, v3, v5
	v_mov_b32_e32 v3, 0x40400000
	v_fma_f32 v20, v1, v7, v3
	v_mov_b32_e32 v1, 0xc0100000
	v_fmac_f32_e32 v1, 0x3fa00000, v0
	v_mul_f32_e32 v1, v0, v1
	v_fma_f32 v21, v0, v1, 1.0
	v_sub_f32_e32 v0, 1.0, v0
	v_mov_b32_e32 v1, 0xc0100000
	v_fmac_f32_e32 v1, 0x3fa00000, v0
	v_mul_f32_e32 v1, v0, v1
	v_fma_f32 v22, v0, v1, 1.0
	v_add_f32_e32 v0, 1.0, v0
	v_mov_b32_e32 v1, 0x40700000
	v_fmac_f32_e32 v1, 0xbf400000, v0
	v_fma_f32 v1, v0, v1, v5
	v_fma_f32 v23, v0, v1, v3
	v_add_f32_e32 v0, 1.0, v2
	v_mov_b32_e32 v1, 0x40700000
	v_fmac_f32_e32 v1, 0xbf400000, v0
	v_fma_f32 v1, v0, v1, v5
	v_fma_f32 v0, v0, v1, v3
	v_mov_b32_e32 v1, 0xc0100000
	v_mov_b32_e32 v7, 0xc0100000
	v_fmac_f32_e32 v1, 0x3fa00000, v2
	v_sub_f32_e32 v8, 1.0, v2
	v_mul_f32_e32 v1, v2, v1
	v_fmac_f32_e32 v7, 0x3fa00000, v8
	v_fma_f32 v1, v2, v1, 1.0
	v_mul_f32_e32 v2, v8, v7
	v_add_f32_e32 v7, 1.0, v8
	v_fmac_f32_e32 v4, 0xbf400000, v7
	v_fmac_f32_e32 v5, v7, v4
	v_ashrrev_i32_e32 v4, 31, v19
	v_fma_f32 v2, v8, v2, 1.0
	v_fmac_f32_e32 v3, v7, v5
	s_waitcnt lgkmcnt(0)
	v_mul_lo_u32 v7, s21, v19
	v_mul_lo_u32 v8, s20, v4
	v_mad_u64_u32 v[4:5], s[2:3], s20, v19, 0
	v_add3_u32 v5, v5, v8, v7
	v_lshlrev_b64 v[4:5], 1, v[4:5]
	v_mov_b32_e32 v7, s1
	v_add_co_u32_e32 v8, vcc, s0, v4
	v_ashrrev_i32_e32 v4, 31, v18
	v_addc_co_u32_e32 v7, vcc, v7, v5, vcc
	v_mul_lo_u32 v9, s23, v18
	v_mul_lo_u32 v10, s22, v4
	v_mad_u64_u32 v[4:5], s[0:1], s22, v18, 0
	v_add3_u32 v5, v5, v10, v9
	v_lshlrev_b64 v[4:5], 1, v[4:5]
	s_cselect_b64 s[6:7], -1, 0
	v_add_co_u32_e32 v24, vcc, v8, v4
	v_add_u32_e32 v4, -1, v12
	s_add_i32 s2, s14, -1
	v_min_i32_e32 v4, s2, v4
	v_addc_co_u32_e32 v25, vcc, v7, v5, vcc
	v_max_i32_e32 v7, 0, v4
	v_mad_u64_u32 v[4:5], s[0:1], s30, v7, 0
	v_add_u32_e32 v26, -1, v6
	v_mov_b32_e32 v6, v5
	v_mad_u64_u32 v[6:7], s[0:1], s31, v7, v[6:7]
	v_mov_b32_e32 v5, v6
	v_min_i32_e32 v6, s2, v12
	v_max_i32_e32 v9, 0, v6
	v_mad_u64_u32 v[6:7], s[0:1], s30, v9, 0
	v_mov_b32_e32 v8, v7
	v_mad_u64_u32 v[8:9], s[0:1], s31, v9, v[8:9]
	v_mov_b32_e32 v7, v8
	v_add_u32_e32 v8, 1, v12
	v_min_i32_e32 v8, s2, v8
	v_max_i32_e32 v9, 0, v8
	v_mad_u64_u32 v[10:11], s[0:1], s30, v9, 0
	v_mov_b32_e32 v8, v11
	v_mad_u64_u32 v[8:9], s[0:1], s31, v9, v[8:9]
	v_mov_b32_e32 v11, v8
	v_add_u32_e32 v8, 2, v12
	v_min_i32_e32 v8, s2, v8
	v_max_i32_e32 v9, 0, v8
	v_mad_u64_u32 v[12:13], s[0:1], s30, v9, 0
	v_mov_b32_e32 v8, v13
	v_mad_u64_u32 v[8:9], s[0:1], s31, v9, v[8:9]
	v_mov_b32_e32 v13, v8
	s_mov_b32 s9, 0
	s_add_i32 s11, s12, -1
	v_lshlrev_b64 v[4:5], 1, v[4:5]
	s_mov_b32 s14, 0xffff0000
	v_lshlrev_b64 v[6:7], 1, v[6:7]
	v_mov_b32_e32 v9, 0
	v_lshlrev_b64 v[10:11], 1, v[10:11]
	v_lshlrev_b64 v[12:13], 1, v[12:13]
	s_branch .LBB10_5
.LBB10_4:                               ;   in Loop: Header=BB10_5 Depth=1
	s_add_i32 s9, s9, 1
	s_cmp_eq_u32 s9, s8
	s_cbranch_scc1 .LBB10_34
.LBB10_5:                               ; =>This Loop Header: Depth=1
                                        ;     Child Loop BB10_8 Depth 2
                                        ;       Child Loop BB10_10 Depth 3
                                        ;         Child Loop BB10_12 Depth 4
                                        ;         Child Loop BB10_18 Depth 4
	;; [unrolled: 1-line block ×4, first 2 shown]
	s_andn2_b64 vcc, exec, s[6:7]
	s_cbranch_vccnz .LBB10_4
; %bb.6:                                ;   in Loop: Header=BB10_5 Depth=1
	s_mul_i32 s0, s17, s9
	s_mul_hi_u32 s1, s16, s9
	s_add_i32 s1, s1, s0
	s_mul_i32 s0, s16, s9
	s_lshl_b64 s[0:1], s[0:1], 1
	v_mov_b32_e32 v8, s1
	v_add_co_u32_e32 v27, vcc, s0, v24
	s_mul_i32 s0, s25, s9
	s_mul_hi_u32 s1, s24, s9
	s_add_i32 s1, s1, s0
	s_mul_i32 s0, s24, s9
	s_lshl_b64 s[0:1], s[0:1], 1
	s_add_u32 s15, s34, s0
	v_addc_co_u32_e32 v28, vcc, v25, v8, vcc
	s_addc_u32 s20, s35, s1
	s_mov_b32 s21, 0
	s_branch .LBB10_8
.LBB10_7:                               ;   in Loop: Header=BB10_8 Depth=2
	s_add_i32 s21, s21, 1
	s_cmp_eq_u32 s21, s10
	s_cbranch_scc1 .LBB10_4
.LBB10_8:                               ;   Parent Loop BB10_5 Depth=1
                                        ; =>  This Loop Header: Depth=2
                                        ;       Child Loop BB10_10 Depth 3
                                        ;         Child Loop BB10_12 Depth 4
                                        ;         Child Loop BB10_18 Depth 4
	;; [unrolled: 1-line block ×4, first 2 shown]
	s_mul_i32 s0, s19, s21
	s_mul_hi_u32 s1, s18, s21
	s_add_i32 s1, s1, s0
	s_mul_i32 s0, s18, s21
	s_lshl_b64 s[0:1], s[0:1], 1
	v_mov_b32_e32 v8, s1
	v_add_co_u32_e32 v14, vcc, s0, v27
	v_addc_co_u32_e32 v15, vcc, v28, v8, vcc
	global_load_ushort v8, v[14:15], off
	s_mul_i32 s1, s27, s21
	s_mul_hi_u32 s2, s26, s21
	s_mul_i32 s0, s26, s21
	s_add_i32 s1, s2, s1
	s_lshl_b64 s[0:1], s[0:1], 1
	s_add_u32 s22, s15, s0
	s_addc_u32 s23, s20, s1
	s_mov_b32 s30, 0
	s_waitcnt vmcnt(0)
	v_cvt_f32_f16_e32 v29, v8
	s_branch .LBB10_10
.LBB10_9:                               ;   in Loop: Header=BB10_10 Depth=3
	s_or_b64 exec, exec, s[12:13]
	s_add_i32 s30, s30, 1
	s_cmp_eq_u32 s30, 4
	s_cbranch_scc1 .LBB10_7
.LBB10_10:                              ;   Parent Loop BB10_5 Depth=1
                                        ;     Parent Loop BB10_8 Depth=2
                                        ; =>    This Loop Header: Depth=3
                                        ;         Child Loop BB10_12 Depth 4
                                        ;         Child Loop BB10_18 Depth 4
	;; [unrolled: 1-line block ×4, first 2 shown]
	v_add_u32_e32 v8, s30, v26
	v_min_i32_e32 v8, s11, v8
	v_max_i32_e32 v16, 0, v8
	v_mad_u64_u32 v[14:15], s[0:1], s28, v16, 0
	v_mov_b32_e32 v8, v15
	v_mad_u64_u32 v[16:17], s[0:1], s29, v16, v[8:9]
	v_mov_b32_e32 v15, v16
	v_lshlrev_b64 v[14:15], 1, v[14:15]
	v_mov_b32_e32 v8, s23
	v_add_co_u32_e32 v30, vcc, s22, v14
	v_addc_co_u32_e32 v31, vcc, v8, v15, vcc
	v_add_co_u32_e32 v8, vcc, v30, v4
	v_addc_co_u32_e32 v15, vcc, v31, v5, vcc
	v_and_b32_e32 v14, -3, v8
	global_load_dword v17, v[14:15], off
	s_cmp_eq_u32 s30, 1
	s_cselect_b64 vcc, -1, 0
	s_cmp_eq_u32 s30, 2
	v_cndmask_b32_e32 v16, v0, v1, vcc
	s_cselect_b64 vcc, -1, 0
	s_cmp_eq_u32 s30, 3
	v_cndmask_b32_e32 v16, v16, v2, vcc
	s_cselect_b64 vcc, -1, 0
	v_cndmask_b32_e32 v16, v16, v3, vcc
	v_mul_f32_e32 v32, v16, v29
	v_and_b32_e32 v8, 2, v8
	v_fma_mixlo_f16 v33, v32, v20, 0
	s_mov_b64 s[12:13], 0
	v_cmp_eq_u64_e32 vcc, 0, v[8:9]
	v_cmp_ne_u32_e64 s[0:1], 0, v8
	s_branch .LBB10_12
.LBB10_11:                              ;   in Loop: Header=BB10_12 Depth=4
	s_or_b64 exec, exec, s[2:3]
	global_atomic_cmpswap v8, v[14:15], v[16:17], off glc
	s_waitcnt vmcnt(0)
	v_cmp_eq_u32_e64 s[2:3], v17, v8
	s_or_b64 s[12:13], s[2:3], s[12:13]
	v_mov_b32_e32 v17, v8
	s_andn2_b64 exec, exec, s[12:13]
	s_cbranch_execz .LBB10_16
.LBB10_12:                              ;   Parent Loop BB10_5 Depth=1
                                        ;     Parent Loop BB10_8 Depth=2
                                        ;       Parent Loop BB10_10 Depth=3
                                        ; =>      This Inner Loop Header: Depth=4
	s_waitcnt vmcnt(0)
	v_lshrrev_b32_e32 v8, 16, v17
	v_cndmask_b32_e32 v8, v8, v17, vcc
	v_add_f16_e32 v8, v33, v8
	s_and_saveexec_b64 s[2:3], s[0:1]
	s_xor_b64 s[2:3], exec, s[2:3]
; %bb.13:                               ;   in Loop: Header=BB10_12 Depth=4
	v_and_b32_e32 v16, 0xffff, v17
	v_lshl_or_b32 v16, v8, 16, v16
                                        ; implicit-def: $vgpr8
; %bb.14:                               ;   in Loop: Header=BB10_12 Depth=4
	s_andn2_saveexec_b64 s[2:3], s[2:3]
	s_cbranch_execz .LBB10_11
; %bb.15:                               ;   in Loop: Header=BB10_12 Depth=4
	v_and_or_b32 v16, v17, s14, v8
	s_branch .LBB10_11
.LBB10_16:                              ;   in Loop: Header=BB10_10 Depth=3
	s_or_b64 exec, exec, s[12:13]
	v_add_co_u32_e32 v8, vcc, v30, v6
	v_addc_co_u32_e32 v15, vcc, v31, v7, vcc
	v_and_b32_e32 v14, -3, v8
	global_load_dword v17, v[14:15], off
	v_and_b32_e32 v8, 2, v8
	v_fma_mixlo_f16 v33, v32, v21, 0
	s_mov_b64 s[12:13], 0
	v_cmp_eq_u64_e32 vcc, 0, v[8:9]
	v_cmp_ne_u32_e64 s[0:1], 0, v8
	s_branch .LBB10_18
.LBB10_17:                              ;   in Loop: Header=BB10_18 Depth=4
	s_or_b64 exec, exec, s[2:3]
	global_atomic_cmpswap v8, v[14:15], v[16:17], off glc
	s_waitcnt vmcnt(0)
	v_cmp_eq_u32_e64 s[2:3], v17, v8
	s_or_b64 s[12:13], s[2:3], s[12:13]
	v_mov_b32_e32 v17, v8
	s_andn2_b64 exec, exec, s[12:13]
	s_cbranch_execz .LBB10_22
.LBB10_18:                              ;   Parent Loop BB10_5 Depth=1
                                        ;     Parent Loop BB10_8 Depth=2
                                        ;       Parent Loop BB10_10 Depth=3
                                        ; =>      This Inner Loop Header: Depth=4
	s_waitcnt vmcnt(0)
	v_lshrrev_b32_e32 v8, 16, v17
	v_cndmask_b32_e32 v8, v8, v17, vcc
	v_add_f16_e32 v8, v33, v8
	s_and_saveexec_b64 s[2:3], s[0:1]
	s_xor_b64 s[2:3], exec, s[2:3]
; %bb.19:                               ;   in Loop: Header=BB10_18 Depth=4
	v_and_b32_e32 v16, 0xffff, v17
	v_lshl_or_b32 v16, v8, 16, v16
                                        ; implicit-def: $vgpr8
; %bb.20:                               ;   in Loop: Header=BB10_18 Depth=4
	s_andn2_saveexec_b64 s[2:3], s[2:3]
	s_cbranch_execz .LBB10_17
; %bb.21:                               ;   in Loop: Header=BB10_18 Depth=4
	v_and_or_b32 v16, v17, s14, v8
	s_branch .LBB10_17
.LBB10_22:                              ;   in Loop: Header=BB10_10 Depth=3
	s_or_b64 exec, exec, s[12:13]
	v_add_co_u32_e32 v8, vcc, v30, v10
	v_addc_co_u32_e32 v15, vcc, v31, v11, vcc
	v_and_b32_e32 v14, -3, v8
	global_load_dword v17, v[14:15], off
	;; [unrolled: 41-line block ×3, first 2 shown]
	v_and_b32_e32 v8, 2, v8
	v_fma_mixlo_f16 v30, v32, v23, 0
	s_mov_b64 s[12:13], 0
	v_cmp_eq_u64_e32 vcc, 0, v[8:9]
	v_cmp_ne_u32_e64 s[0:1], 0, v8
	s_branch .LBB10_30
.LBB10_29:                              ;   in Loop: Header=BB10_30 Depth=4
	s_or_b64 exec, exec, s[2:3]
	global_atomic_cmpswap v8, v[14:15], v[16:17], off glc
	s_waitcnt vmcnt(0)
	v_cmp_eq_u32_e64 s[2:3], v17, v8
	s_or_b64 s[12:13], s[2:3], s[12:13]
	v_mov_b32_e32 v17, v8
	s_andn2_b64 exec, exec, s[12:13]
	s_cbranch_execz .LBB10_9
.LBB10_30:                              ;   Parent Loop BB10_5 Depth=1
                                        ;     Parent Loop BB10_8 Depth=2
                                        ;       Parent Loop BB10_10 Depth=3
                                        ; =>      This Inner Loop Header: Depth=4
	s_waitcnt vmcnt(0)
	v_lshrrev_b32_e32 v8, 16, v17
	v_cndmask_b32_e32 v8, v8, v17, vcc
	v_add_f16_e32 v8, v30, v8
	s_and_saveexec_b64 s[2:3], s[0:1]
	s_xor_b64 s[2:3], exec, s[2:3]
; %bb.31:                               ;   in Loop: Header=BB10_30 Depth=4
	v_and_b32_e32 v16, 0xffff, v17
	v_lshl_or_b32 v16, v8, 16, v16
                                        ; implicit-def: $vgpr8
; %bb.32:                               ;   in Loop: Header=BB10_30 Depth=4
	s_andn2_saveexec_b64 s[2:3], s[2:3]
	s_cbranch_execz .LBB10_29
; %bb.33:                               ;   in Loop: Header=BB10_30 Depth=4
	v_and_or_b32 v16, v17, s14, v8
	s_branch .LBB10_29
.LBB10_34:
	s_mov_b64 s[6:7], 0
.LBB10_35:
	s_andn2_b64 vcc, exec, s[6:7]
	s_cbranch_vccnz .LBB10_41
; %bb.36:
	s_cmp_lt_i32 s8, 1
	s_cbranch_scc1 .LBB10_41
; %bb.37:
	s_load_dwordx8 s[12:19], s[4:5], 0x80
	s_load_dwordx2 s[0:1], s[4:5], 0x10
	s_load_dwordx8 s[20:27], s[4:5], 0x38
	s_load_dwordx2 s[2:3], s[4:5], 0x58
	v_ashrrev_i32_e32 v2, 31, v19
	s_waitcnt lgkmcnt(0)
	v_mul_lo_u32 v3, s17, v19
	v_mul_lo_u32 v4, s16, v2
	v_mad_u64_u32 v[0:1], s[4:5], s16, v19, 0
	v_add3_u32 v1, v1, v4, v3
	v_lshlrev_b64 v[0:1], 1, v[0:1]
	v_mov_b32_e32 v3, s3
	v_add_co_u32_e32 v4, vcc, s2, v0
	v_ashrrev_i32_e32 v5, 31, v18
	v_addc_co_u32_e32 v3, vcc, v3, v1, vcc
	v_mul_lo_u32 v6, s19, v18
	v_mul_lo_u32 v7, s18, v5
	v_mad_u64_u32 v[0:1], s[2:3], s18, v18, 0
	v_add3_u32 v1, v1, v7, v6
	v_lshlrev_b64 v[0:1], 1, v[0:1]
	v_add_co_u32_e32 v0, vcc, v4, v0
	v_addc_co_u32_e32 v1, vcc, v3, v1, vcc
	v_mul_lo_u32 v4, s25, v19
	v_mul_lo_u32 v6, s24, v2
	v_mad_u64_u32 v[2:3], s[2:3], s24, v19, 0
	v_add3_u32 v3, v3, v6, v4
	v_lshlrev_b64 v[2:3], 1, v[2:3]
	v_mov_b32_e32 v4, s1
	v_add_co_u32_e32 v6, vcc, s0, v2
	v_addc_co_u32_e32 v4, vcc, v4, v3, vcc
	v_mul_lo_u32 v7, s27, v18
	v_mul_lo_u32 v5, s26, v5
	v_mad_u64_u32 v[2:3], s[0:1], s26, v18, 0
	v_add3_u32 v3, v3, v5, v7
	s_cmp_gt_i32 s10, 0
	v_lshlrev_b64 v[2:3], 1, v[2:3]
	v_add_co_u32_e32 v2, vcc, v6, v2
	s_cselect_b64 s[0:1], -1, 0
	v_addc_co_u32_e32 v3, vcc, v4, v3, vcc
	s_lshl_b64 s[2:3], s[20:21], 1
	s_lshl_b64 s[6:7], s[12:13], 1
	v_cndmask_b32_e64 v4, 0, 1, s[0:1]
	s_mov_b32 s9, 0
	s_lshl_b64 s[4:5], s[22:23], 1
	s_lshl_b64 s[12:13], s[14:15], 1
	v_cmp_ne_u32_e64 s[0:1], 1, v4
	v_mov_b32_e32 v8, s3
	v_mov_b32_e32 v9, s7
	s_branch .LBB10_39
.LBB10_38:                              ;   in Loop: Header=BB10_39 Depth=1
	v_add_co_u32_e32 v2, vcc, s2, v2
	v_addc_co_u32_e32 v3, vcc, v3, v8, vcc
	s_add_i32 s9, s9, 1
	v_add_co_u32_e32 v0, vcc, s6, v0
	s_cmp_eq_u32 s9, s8
	v_addc_co_u32_e32 v1, vcc, v1, v9, vcc
	s_cbranch_scc1 .LBB10_41
.LBB10_39:                              ; =>This Loop Header: Depth=1
                                        ;     Child Loop BB10_40 Depth 2
	s_and_b64 vcc, exec, s[0:1]
	v_pk_mov_b32 v[4:5], v[0:1], v[0:1] op_sel:[0,1]
	v_pk_mov_b32 v[6:7], v[2:3], v[2:3] op_sel:[0,1]
	s_mov_b32 s3, s10
	s_cbranch_vccnz .LBB10_38
.LBB10_40:                              ;   Parent Loop BB10_39 Depth=1
                                        ; =>  This Inner Loop Header: Depth=2
	global_load_ushort v10, v[4:5], off
	v_mov_b32_e32 v12, s13
	v_add_co_u32_e32 v4, vcc, s12, v4
	v_addc_co_u32_e32 v5, vcc, v5, v12, vcc
	s_add_i32 s3, s3, -1
	v_mov_b32_e32 v11, s5
	s_cmp_eq_u32 s3, 0
	s_waitcnt vmcnt(0)
	global_store_short v[6:7], v10, off
	v_add_co_u32_e32 v6, vcc, s4, v6
	v_addc_co_u32_e32 v7, vcc, v7, v11, vcc
	s_cbranch_scc0 .LBB10_40
	s_branch .LBB10_38
.LBB10_41:
	s_endpgm
	.section	.rodata,"a",@progbits
	.p2align	6, 0x0
	.amdhsa_kernel _ZN2at6native12_GLOBAL__N_137upsample_bicubic2d_backward_out_frameIN3c104HalfEfEEviT0_S5_bN5torch10headeronly6detail27GenericPackedTensorAccessorINS8_14TensorAccessorINS3_8ArrayRefIlEET_Lm3ENS7_16DefaultPtrTraitsElEENS_6detail16IndexBoundsCheckILm4ElEESD_Lm4ESE_lEENS9_INSA_ISC_KSD_Lm3ESE_lEESI_SK_Lm4ESE_lEE
		.amdhsa_group_segment_fixed_size 0
		.amdhsa_private_segment_fixed_size 0
		.amdhsa_kernarg_size 416
		.amdhsa_user_sgpr_count 6
		.amdhsa_user_sgpr_private_segment_buffer 1
		.amdhsa_user_sgpr_dispatch_ptr 0
		.amdhsa_user_sgpr_queue_ptr 0
		.amdhsa_user_sgpr_kernarg_segment_ptr 1
		.amdhsa_user_sgpr_dispatch_id 0
		.amdhsa_user_sgpr_flat_scratch_init 0
		.amdhsa_user_sgpr_kernarg_preload_length 0
		.amdhsa_user_sgpr_kernarg_preload_offset 0
		.amdhsa_user_sgpr_private_segment_size 0
		.amdhsa_uses_dynamic_stack 0
		.amdhsa_system_sgpr_private_segment_wavefront_offset 0
		.amdhsa_system_sgpr_workgroup_id_x 1
		.amdhsa_system_sgpr_workgroup_id_y 0
		.amdhsa_system_sgpr_workgroup_id_z 0
		.amdhsa_system_sgpr_workgroup_info 0
		.amdhsa_system_vgpr_workitem_id 0
		.amdhsa_next_free_vgpr 34
		.amdhsa_next_free_sgpr 36
		.amdhsa_accum_offset 36
		.amdhsa_reserve_vcc 1
		.amdhsa_reserve_flat_scratch 0
		.amdhsa_float_round_mode_32 0
		.amdhsa_float_round_mode_16_64 0
		.amdhsa_float_denorm_mode_32 3
		.amdhsa_float_denorm_mode_16_64 3
		.amdhsa_dx10_clamp 1
		.amdhsa_ieee_mode 1
		.amdhsa_fp16_overflow 0
		.amdhsa_tg_split 0
		.amdhsa_exception_fp_ieee_invalid_op 0
		.amdhsa_exception_fp_denorm_src 0
		.amdhsa_exception_fp_ieee_div_zero 0
		.amdhsa_exception_fp_ieee_overflow 0
		.amdhsa_exception_fp_ieee_underflow 0
		.amdhsa_exception_fp_ieee_inexact 0
		.amdhsa_exception_int_div_zero 0
	.end_amdhsa_kernel
	.section	.text._ZN2at6native12_GLOBAL__N_137upsample_bicubic2d_backward_out_frameIN3c104HalfEfEEviT0_S5_bN5torch10headeronly6detail27GenericPackedTensorAccessorINS8_14TensorAccessorINS3_8ArrayRefIlEET_Lm3ENS7_16DefaultPtrTraitsElEENS_6detail16IndexBoundsCheckILm4ElEESD_Lm4ESE_lEENS9_INSA_ISC_KSD_Lm3ESE_lEESI_SK_Lm4ESE_lEE,"axG",@progbits,_ZN2at6native12_GLOBAL__N_137upsample_bicubic2d_backward_out_frameIN3c104HalfEfEEviT0_S5_bN5torch10headeronly6detail27GenericPackedTensorAccessorINS8_14TensorAccessorINS3_8ArrayRefIlEET_Lm3ENS7_16DefaultPtrTraitsElEENS_6detail16IndexBoundsCheckILm4ElEESD_Lm4ESE_lEENS9_INSA_ISC_KSD_Lm3ESE_lEESI_SK_Lm4ESE_lEE,comdat
.Lfunc_end10:
	.size	_ZN2at6native12_GLOBAL__N_137upsample_bicubic2d_backward_out_frameIN3c104HalfEfEEviT0_S5_bN5torch10headeronly6detail27GenericPackedTensorAccessorINS8_14TensorAccessorINS3_8ArrayRefIlEET_Lm3ENS7_16DefaultPtrTraitsElEENS_6detail16IndexBoundsCheckILm4ElEESD_Lm4ESE_lEENS9_INSA_ISC_KSD_Lm3ESE_lEESI_SK_Lm4ESE_lEE, .Lfunc_end10-_ZN2at6native12_GLOBAL__N_137upsample_bicubic2d_backward_out_frameIN3c104HalfEfEEviT0_S5_bN5torch10headeronly6detail27GenericPackedTensorAccessorINS8_14TensorAccessorINS3_8ArrayRefIlEET_Lm3ENS7_16DefaultPtrTraitsElEENS_6detail16IndexBoundsCheckILm4ElEESD_Lm4ESE_lEENS9_INSA_ISC_KSD_Lm3ESE_lEESI_SK_Lm4ESE_lEE
                                        ; -- End function
	.section	.AMDGPU.csdata,"",@progbits
; Kernel info:
; codeLenInByte = 2316
; NumSgprs: 40
; NumVgprs: 34
; NumAgprs: 0
; TotalNumVgprs: 34
; ScratchSize: 0
; MemoryBound: 0
; FloatMode: 240
; IeeeMode: 1
; LDSByteSize: 0 bytes/workgroup (compile time only)
; SGPRBlocks: 4
; VGPRBlocks: 4
; NumSGPRsForWavesPerEU: 40
; NumVGPRsForWavesPerEU: 34
; AccumOffset: 36
; Occupancy: 8
; WaveLimiterHint : 1
; COMPUTE_PGM_RSRC2:SCRATCH_EN: 0
; COMPUTE_PGM_RSRC2:USER_SGPR: 6
; COMPUTE_PGM_RSRC2:TRAP_HANDLER: 0
; COMPUTE_PGM_RSRC2:TGID_X_EN: 1
; COMPUTE_PGM_RSRC2:TGID_Y_EN: 0
; COMPUTE_PGM_RSRC2:TGID_Z_EN: 0
; COMPUTE_PGM_RSRC2:TIDIG_COMP_CNT: 0
; COMPUTE_PGM_RSRC3_GFX90A:ACCUM_OFFSET: 8
; COMPUTE_PGM_RSRC3_GFX90A:TG_SPLIT: 0
	.section	.text._ZN2at6native12_GLOBAL__N_137upsample_bicubic2d_backward_out_frameIN3c108BFloat16EfEEviT0_S5_bN5torch10headeronly6detail27GenericPackedTensorAccessorINS8_14TensorAccessorINS3_8ArrayRefIlEET_Lm3ENS7_16DefaultPtrTraitsElEENS_6detail16IndexBoundsCheckILm4ElEESD_Lm4ESE_lEENS9_INSA_ISC_KSD_Lm3ESE_lEESI_SK_Lm4ESE_lEE,"axG",@progbits,_ZN2at6native12_GLOBAL__N_137upsample_bicubic2d_backward_out_frameIN3c108BFloat16EfEEviT0_S5_bN5torch10headeronly6detail27GenericPackedTensorAccessorINS8_14TensorAccessorINS3_8ArrayRefIlEET_Lm3ENS7_16DefaultPtrTraitsElEENS_6detail16IndexBoundsCheckILm4ElEESD_Lm4ESE_lEENS9_INSA_ISC_KSD_Lm3ESE_lEESI_SK_Lm4ESE_lEE,comdat
	.globl	_ZN2at6native12_GLOBAL__N_137upsample_bicubic2d_backward_out_frameIN3c108BFloat16EfEEviT0_S5_bN5torch10headeronly6detail27GenericPackedTensorAccessorINS8_14TensorAccessorINS3_8ArrayRefIlEET_Lm3ENS7_16DefaultPtrTraitsElEENS_6detail16IndexBoundsCheckILm4ElEESD_Lm4ESE_lEENS9_INSA_ISC_KSD_Lm3ESE_lEESI_SK_Lm4ESE_lEE ; -- Begin function _ZN2at6native12_GLOBAL__N_137upsample_bicubic2d_backward_out_frameIN3c108BFloat16EfEEviT0_S5_bN5torch10headeronly6detail27GenericPackedTensorAccessorINS8_14TensorAccessorINS3_8ArrayRefIlEET_Lm3ENS7_16DefaultPtrTraitsElEENS_6detail16IndexBoundsCheckILm4ElEESD_Lm4ESE_lEENS9_INSA_ISC_KSD_Lm3ESE_lEESI_SK_Lm4ESE_lEE
	.p2align	8
	.type	_ZN2at6native12_GLOBAL__N_137upsample_bicubic2d_backward_out_frameIN3c108BFloat16EfEEviT0_S5_bN5torch10headeronly6detail27GenericPackedTensorAccessorINS8_14TensorAccessorINS3_8ArrayRefIlEET_Lm3ENS7_16DefaultPtrTraitsElEENS_6detail16IndexBoundsCheckILm4ElEESD_Lm4ESE_lEENS9_INSA_ISC_KSD_Lm3ESE_lEESI_SK_Lm4ESE_lEE,@function
_ZN2at6native12_GLOBAL__N_137upsample_bicubic2d_backward_out_frameIN3c108BFloat16EfEEviT0_S5_bN5torch10headeronly6detail27GenericPackedTensorAccessorINS8_14TensorAccessorINS3_8ArrayRefIlEET_Lm3ENS7_16DefaultPtrTraitsElEENS_6detail16IndexBoundsCheckILm4ElEESD_Lm4ESE_lEENS9_INSA_ISC_KSD_Lm3ESE_lEESI_SK_Lm4ESE_lEE: ; @_ZN2at6native12_GLOBAL__N_137upsample_bicubic2d_backward_out_frameIN3c108BFloat16EfEEviT0_S5_bN5torch10headeronly6detail27GenericPackedTensorAccessorINS8_14TensorAccessorINS3_8ArrayRefIlEET_Lm3ENS7_16DefaultPtrTraitsElEENS_6detail16IndexBoundsCheckILm4ElEESD_Lm4ESE_lEENS9_INSA_ISC_KSD_Lm3ESE_lEESI_SK_Lm4ESE_lEE
; %bb.0:
	s_load_dword s7, s[4:5], 0xac
	s_load_dwordx4 s[0:3], s[4:5], 0x0
	s_waitcnt lgkmcnt(0)
	s_and_b32 s7, s7, 0xffff
	s_mul_i32 s6, s6, s7
	v_add_u32_e32 v0, s6, v0
	v_cmp_gt_i32_e32 vcc, s0, v0
	s_and_saveexec_b64 s[6:7], vcc
	s_cbranch_execz .LBB11_41
; %bb.1:
	s_load_dwordx4 s[16:19], s[4:5], 0x70
	s_load_dwordx8 s[8:15], s[4:5], 0x18
	v_sub_u32_e32 v2, 0, v0
	v_max_i32_e32 v2, v0, v2
	s_waitcnt lgkmcnt(0)
	s_abs_i32 s0, s18
	v_cvt_f32_u32_e32 v1, s0
	s_sub_i32 s9, 0, s0
	v_xor_b32_e32 v3, s18, v0
	v_ashrrev_i32_e32 v3, 31, v3
	v_rcp_iflag_f32_e32 v1, v1
	s_cmp_lg_u32 s12, s16
	s_cselect_b64 s[6:7], -1, 0
	s_cmp_lg_u32 s14, s18
	v_mul_f32_e32 v1, 0x4f7ffffe, v1
	v_cvt_u32_f32_e32 v1, v1
	s_cselect_b64 s[16:17], -1, 0
	s_or_b64 s[16:17], s[16:17], s[6:7]
	s_mov_b64 s[6:7], -1
	v_mul_lo_u32 v4, s9, v1
	v_mul_hi_u32 v4, v1, v4
	v_add_u32_e32 v1, v1, v4
	v_mul_hi_u32 v1, v2, v1
	v_mul_lo_u32 v4, v1, s0
	v_sub_u32_e32 v2, v2, v4
	v_add_u32_e32 v5, 1, v1
	v_cmp_le_u32_e32 vcc, s0, v2
	v_subrev_u32_e32 v4, s0, v2
	v_cndmask_b32_e32 v1, v1, v5, vcc
	v_cndmask_b32_e32 v2, v2, v4, vcc
	v_add_u32_e32 v4, 1, v1
	v_cmp_le_u32_e32 vcc, s0, v2
	v_cndmask_b32_e32 v1, v1, v4, vcc
	v_xor_b32_e32 v1, v1, v3
	v_sub_u32_e32 v19, v1, v3
	v_mul_lo_u32 v1, v19, s18
	v_sub_u32_e32 v18, v0, v1
	s_and_b64 vcc, exec, s[16:17]
	s_cbranch_vccz .LBB11_35
; %bb.2:
	s_cmp_lt_i32 s8, 1
	s_cbranch_scc1 .LBB11_34
; %bb.3:
	v_cvt_f32_i32_e32 v0, v18
	s_bitcmp1_b32 s3, 0
	v_cvt_f32_i32_e32 v1, v19
	s_cselect_b64 vcc, -1, 0
	v_mul_f32_e32 v2, s2, v0
	v_add_f32_e32 v0, 0.5, v0
	v_fma_f32 v0, v0, s2, -0.5
	v_cndmask_b32_e32 v0, v0, v2, vcc
	v_floor_f32_e32 v2, v0
	v_cvt_i32_f32_e32 v12, v2
	v_mul_f32_e32 v2, s1, v1
	v_add_f32_e32 v1, 0.5, v1
	v_fma_f32 v1, v1, s1, -0.5
	v_cndmask_b32_e32 v1, v1, v2, vcc
	v_floor_f32_e32 v2, v1
	v_cvt_i32_f32_e32 v6, v2
	v_cvt_f32_i32_e32 v2, v12
	v_mov_b32_e32 v5, 0xc0c00000
	v_mov_b32_e32 v4, 0x40700000
	v_cvt_f32_i32_e32 v3, v6
	v_sub_f32_e32 v0, v0, v2
	s_load_dwordx8 s[16:23], s[4:5], 0x80
	s_load_dwordx2 s[34:35], s[4:5], 0x10
	s_load_dwordx8 s[24:31], s[4:5], 0x38
	s_load_dwordx2 s[0:1], s[4:5], 0x58
	s_cmp_gt_i32 s10, 0
	v_sub_f32_e32 v2, v1, v3
	v_add_f32_e32 v1, 1.0, v0
	v_mov_b32_e32 v3, 0x40700000
	v_fmac_f32_e32 v3, 0xbf400000, v1
	v_fma_f32 v7, v1, v3, v5
	v_mov_b32_e32 v3, 0x40400000
	v_fma_f32 v20, v1, v7, v3
	v_mov_b32_e32 v1, 0xc0100000
	v_fmac_f32_e32 v1, 0x3fa00000, v0
	v_mul_f32_e32 v1, v0, v1
	v_fma_f32 v21, v0, v1, 1.0
	v_sub_f32_e32 v0, 1.0, v0
	v_mov_b32_e32 v1, 0xc0100000
	v_fmac_f32_e32 v1, 0x3fa00000, v0
	v_mul_f32_e32 v1, v0, v1
	v_fma_f32 v22, v0, v1, 1.0
	v_add_f32_e32 v0, 1.0, v0
	v_mov_b32_e32 v1, 0x40700000
	v_fmac_f32_e32 v1, 0xbf400000, v0
	v_fma_f32 v1, v0, v1, v5
	v_fma_f32 v23, v0, v1, v3
	v_add_f32_e32 v0, 1.0, v2
	v_mov_b32_e32 v1, 0x40700000
	v_fmac_f32_e32 v1, 0xbf400000, v0
	v_fma_f32 v1, v0, v1, v5
	v_fma_f32 v0, v0, v1, v3
	v_mov_b32_e32 v1, 0xc0100000
	v_mov_b32_e32 v7, 0xc0100000
	v_fmac_f32_e32 v1, 0x3fa00000, v2
	v_sub_f32_e32 v8, 1.0, v2
	v_mul_f32_e32 v1, v2, v1
	v_fmac_f32_e32 v7, 0x3fa00000, v8
	v_fma_f32 v1, v2, v1, 1.0
	v_mul_f32_e32 v2, v8, v7
	v_add_f32_e32 v7, 1.0, v8
	v_fmac_f32_e32 v4, 0xbf400000, v7
	v_fmac_f32_e32 v5, v7, v4
	v_ashrrev_i32_e32 v4, 31, v19
	v_fma_f32 v2, v8, v2, 1.0
	v_fmac_f32_e32 v3, v7, v5
	s_waitcnt lgkmcnt(0)
	v_mul_lo_u32 v7, s21, v19
	v_mul_lo_u32 v8, s20, v4
	v_mad_u64_u32 v[4:5], s[2:3], s20, v19, 0
	v_add3_u32 v5, v5, v8, v7
	v_lshlrev_b64 v[4:5], 1, v[4:5]
	v_mov_b32_e32 v7, s1
	v_add_co_u32_e32 v8, vcc, s0, v4
	v_ashrrev_i32_e32 v4, 31, v18
	v_addc_co_u32_e32 v7, vcc, v7, v5, vcc
	v_mul_lo_u32 v9, s23, v18
	v_mul_lo_u32 v10, s22, v4
	v_mad_u64_u32 v[4:5], s[0:1], s22, v18, 0
	v_add3_u32 v5, v5, v10, v9
	v_lshlrev_b64 v[4:5], 1, v[4:5]
	s_cselect_b64 s[6:7], -1, 0
	v_add_co_u32_e32 v24, vcc, v8, v4
	v_add_u32_e32 v4, -1, v12
	s_add_i32 s2, s14, -1
	v_min_i32_e32 v4, s2, v4
	v_addc_co_u32_e32 v25, vcc, v7, v5, vcc
	v_max_i32_e32 v7, 0, v4
	v_mad_u64_u32 v[4:5], s[0:1], s30, v7, 0
	v_add_u32_e32 v26, -1, v6
	v_mov_b32_e32 v6, v5
	v_mad_u64_u32 v[6:7], s[0:1], s31, v7, v[6:7]
	v_mov_b32_e32 v5, v6
	v_min_i32_e32 v6, s2, v12
	v_max_i32_e32 v9, 0, v6
	v_mad_u64_u32 v[6:7], s[0:1], s30, v9, 0
	v_mov_b32_e32 v8, v7
	v_mad_u64_u32 v[8:9], s[0:1], s31, v9, v[8:9]
	v_mov_b32_e32 v7, v8
	v_add_u32_e32 v8, 1, v12
	v_min_i32_e32 v8, s2, v8
	v_max_i32_e32 v9, 0, v8
	v_mad_u64_u32 v[10:11], s[0:1], s30, v9, 0
	v_mov_b32_e32 v8, v11
	v_mad_u64_u32 v[8:9], s[0:1], s31, v9, v[8:9]
	v_mov_b32_e32 v11, v8
	v_add_u32_e32 v8, 2, v12
	v_min_i32_e32 v8, s2, v8
	v_max_i32_e32 v9, 0, v8
	v_mad_u64_u32 v[12:13], s[0:1], s30, v9, 0
	v_mov_b32_e32 v8, v13
	v_mad_u64_u32 v[8:9], s[0:1], s31, v9, v[8:9]
	v_mov_b32_e32 v13, v8
	s_mov_b32 s9, 0
	s_add_i32 s11, s12, -1
	v_lshlrev_b64 v[4:5], 1, v[4:5]
	s_movk_i32 s14, 0x7fff
	s_mov_b32 s15, 0xffff0000
	v_lshlrev_b64 v[6:7], 1, v[6:7]
	v_mov_b32_e32 v9, 0
	v_lshlrev_b64 v[10:11], 1, v[10:11]
	v_lshlrev_b64 v[12:13], 1, v[12:13]
	v_mov_b32_e32 v27, 0x7fc00000
	v_mov_b32_e32 v28, 0x7fc0
	s_branch .LBB11_5
.LBB11_4:                               ;   in Loop: Header=BB11_5 Depth=1
	s_add_i32 s9, s9, 1
	s_cmp_eq_u32 s9, s8
	s_cbranch_scc1 .LBB11_34
.LBB11_5:                               ; =>This Loop Header: Depth=1
                                        ;     Child Loop BB11_8 Depth 2
                                        ;       Child Loop BB11_10 Depth 3
                                        ;         Child Loop BB11_12 Depth 4
                                        ;         Child Loop BB11_18 Depth 4
	;; [unrolled: 1-line block ×4, first 2 shown]
	s_andn2_b64 vcc, exec, s[6:7]
	s_cbranch_vccnz .LBB11_4
; %bb.6:                                ;   in Loop: Header=BB11_5 Depth=1
	s_mul_i32 s0, s17, s9
	s_mul_hi_u32 s1, s16, s9
	s_add_i32 s1, s1, s0
	s_mul_i32 s0, s16, s9
	s_lshl_b64 s[0:1], s[0:1], 1
	v_mov_b32_e32 v8, s1
	v_add_co_u32_e32 v29, vcc, s0, v24
	s_mul_i32 s0, s25, s9
	s_mul_hi_u32 s1, s24, s9
	s_add_i32 s1, s1, s0
	s_mul_i32 s0, s24, s9
	s_lshl_b64 s[0:1], s[0:1], 1
	s_add_u32 s20, s34, s0
	v_addc_co_u32_e32 v30, vcc, v25, v8, vcc
	s_addc_u32 s21, s35, s1
	s_mov_b32 s22, 0
	s_branch .LBB11_8
.LBB11_7:                               ;   in Loop: Header=BB11_8 Depth=2
	s_add_i32 s22, s22, 1
	s_cmp_eq_u32 s22, s10
	s_cbranch_scc1 .LBB11_4
.LBB11_8:                               ;   Parent Loop BB11_5 Depth=1
                                        ; =>  This Loop Header: Depth=2
                                        ;       Child Loop BB11_10 Depth 3
                                        ;         Child Loop BB11_12 Depth 4
                                        ;         Child Loop BB11_18 Depth 4
	;; [unrolled: 1-line block ×4, first 2 shown]
	s_mul_i32 s0, s19, s22
	s_mul_hi_u32 s1, s18, s22
	s_add_i32 s1, s1, s0
	s_mul_i32 s0, s18, s22
	s_lshl_b64 s[0:1], s[0:1], 1
	v_mov_b32_e32 v8, s1
	v_add_co_u32_e32 v14, vcc, s0, v29
	v_addc_co_u32_e32 v15, vcc, v30, v8, vcc
	global_load_ushort v8, v[14:15], off
	s_mul_i32 s1, s27, s22
	s_mul_hi_u32 s2, s26, s22
	s_mul_i32 s0, s26, s22
	s_add_i32 s1, s2, s1
	s_lshl_b64 s[0:1], s[0:1], 1
	s_add_u32 s23, s20, s0
	s_addc_u32 s30, s21, s1
	s_mov_b32 s31, 0
	s_waitcnt vmcnt(0)
	v_lshlrev_b32_e32 v31, 16, v8
	s_branch .LBB11_10
.LBB11_9:                               ;   in Loop: Header=BB11_10 Depth=3
	s_or_b64 exec, exec, s[12:13]
	s_add_i32 s31, s31, 1
	s_cmp_eq_u32 s31, 4
	s_cbranch_scc1 .LBB11_7
.LBB11_10:                              ;   Parent Loop BB11_5 Depth=1
                                        ;     Parent Loop BB11_8 Depth=2
                                        ; =>    This Loop Header: Depth=3
                                        ;         Child Loop BB11_12 Depth 4
                                        ;         Child Loop BB11_18 Depth 4
	;; [unrolled: 1-line block ×4, first 2 shown]
	v_add_u32_e32 v8, s31, v26
	v_min_i32_e32 v8, s11, v8
	v_max_i32_e32 v16, 0, v8
	v_mad_u64_u32 v[14:15], s[0:1], s28, v16, 0
	v_mov_b32_e32 v8, v15
	v_mad_u64_u32 v[16:17], s[0:1], s29, v16, v[8:9]
	v_mov_b32_e32 v15, v16
	v_lshlrev_b64 v[14:15], 1, v[14:15]
	v_mov_b32_e32 v8, s30
	v_add_co_u32_e32 v32, vcc, s23, v14
	v_addc_co_u32_e32 v33, vcc, v8, v15, vcc
	v_add_co_u32_e32 v8, vcc, v32, v4
	v_addc_co_u32_e32 v15, vcc, v33, v5, vcc
	v_and_b32_e32 v14, -3, v8
	global_load_dword v17, v[14:15], off
	s_cmp_eq_u32 s31, 1
	s_cselect_b64 vcc, -1, 0
	s_cmp_eq_u32 s31, 2
	v_cndmask_b32_e32 v16, v0, v1, vcc
	s_cselect_b64 vcc, -1, 0
	s_cmp_eq_u32 s31, 3
	v_cndmask_b32_e32 v16, v16, v2, vcc
	s_cselect_b64 vcc, -1, 0
	v_cndmask_b32_e32 v16, v16, v3, vcc
	v_mul_f32_e32 v34, v16, v31
	v_mul_f32_e32 v16, v34, v20
	v_bfe_u32 v35, v16, 16, 1
	v_add3_u32 v35, v16, v35, s14
	v_and_b32_e32 v35, 0xffff0000, v35
	v_and_b32_e32 v8, 2, v8
	v_cmp_o_f32_e64 s[2:3], v16, v16
	s_mov_b64 s[12:13], 0
	v_cmp_eq_u64_e32 vcc, 0, v[8:9]
	v_cmp_ne_u32_e64 s[0:1], 0, v8
	v_cndmask_b32_e64 v8, v27, v35, s[2:3]
	s_branch .LBB11_12
.LBB11_11:                              ;   in Loop: Header=BB11_12 Depth=4
	s_or_b64 exec, exec, s[2:3]
	global_atomic_cmpswap v16, v[14:15], v[16:17], off glc
	s_waitcnt vmcnt(0)
	v_cmp_eq_u32_e64 s[2:3], v17, v16
	s_or_b64 s[12:13], s[2:3], s[12:13]
	v_mov_b32_e32 v17, v16
	s_andn2_b64 exec, exec, s[12:13]
	s_cbranch_execz .LBB11_16
.LBB11_12:                              ;   Parent Loop BB11_5 Depth=1
                                        ;     Parent Loop BB11_8 Depth=2
                                        ;       Parent Loop BB11_10 Depth=3
                                        ; =>      This Inner Loop Header: Depth=4
	s_waitcnt vmcnt(0)
	v_lshrrev_b32_e32 v16, 16, v17
	v_cndmask_b32_e32 v16, v16, v17, vcc
	v_lshlrev_b32_e32 v16, 16, v16
	v_add_f32_e32 v16, v8, v16
	v_bfe_u32 v35, v16, 16, 1
	v_add3_u32 v35, v16, v35, s14
	v_lshrrev_b32_e32 v35, 16, v35
	v_cmp_o_f32_e64 s[2:3], v16, v16
	v_cndmask_b32_e64 v35, v28, v35, s[2:3]
	s_and_saveexec_b64 s[2:3], s[0:1]
	s_xor_b64 s[2:3], exec, s[2:3]
; %bb.13:                               ;   in Loop: Header=BB11_12 Depth=4
	v_and_b32_e32 v16, 0xffff, v17
	v_lshl_or_b32 v16, v35, 16, v16
                                        ; implicit-def: $vgpr35
; %bb.14:                               ;   in Loop: Header=BB11_12 Depth=4
	s_andn2_saveexec_b64 s[2:3], s[2:3]
	s_cbranch_execz .LBB11_11
; %bb.15:                               ;   in Loop: Header=BB11_12 Depth=4
	v_and_or_b32 v16, v17, s15, v35
	s_branch .LBB11_11
.LBB11_16:                              ;   in Loop: Header=BB11_10 Depth=3
	s_or_b64 exec, exec, s[12:13]
	v_add_co_u32_e32 v8, vcc, v32, v6
	v_addc_co_u32_e32 v15, vcc, v33, v7, vcc
	v_and_b32_e32 v14, -3, v8
	global_load_dword v17, v[14:15], off
	v_mul_f32_e32 v16, v34, v21
	v_bfe_u32 v35, v16, 16, 1
	v_add3_u32 v35, v16, v35, s14
	v_and_b32_e32 v35, 0xffff0000, v35
	v_and_b32_e32 v8, 2, v8
	v_cmp_o_f32_e64 s[2:3], v16, v16
	s_mov_b64 s[12:13], 0
	v_cmp_eq_u64_e32 vcc, 0, v[8:9]
	v_cmp_ne_u32_e64 s[0:1], 0, v8
	v_cndmask_b32_e64 v8, v27, v35, s[2:3]
	s_branch .LBB11_18
.LBB11_17:                              ;   in Loop: Header=BB11_18 Depth=4
	s_or_b64 exec, exec, s[2:3]
	global_atomic_cmpswap v16, v[14:15], v[16:17], off glc
	s_waitcnt vmcnt(0)
	v_cmp_eq_u32_e64 s[2:3], v17, v16
	s_or_b64 s[12:13], s[2:3], s[12:13]
	v_mov_b32_e32 v17, v16
	s_andn2_b64 exec, exec, s[12:13]
	s_cbranch_execz .LBB11_22
.LBB11_18:                              ;   Parent Loop BB11_5 Depth=1
                                        ;     Parent Loop BB11_8 Depth=2
                                        ;       Parent Loop BB11_10 Depth=3
                                        ; =>      This Inner Loop Header: Depth=4
	s_waitcnt vmcnt(0)
	v_lshrrev_b32_e32 v16, 16, v17
	v_cndmask_b32_e32 v16, v16, v17, vcc
	v_lshlrev_b32_e32 v16, 16, v16
	v_add_f32_e32 v16, v8, v16
	v_bfe_u32 v35, v16, 16, 1
	v_add3_u32 v35, v16, v35, s14
	v_lshrrev_b32_e32 v35, 16, v35
	v_cmp_o_f32_e64 s[2:3], v16, v16
	v_cndmask_b32_e64 v35, v28, v35, s[2:3]
	s_and_saveexec_b64 s[2:3], s[0:1]
	s_xor_b64 s[2:3], exec, s[2:3]
; %bb.19:                               ;   in Loop: Header=BB11_18 Depth=4
	v_and_b32_e32 v16, 0xffff, v17
	v_lshl_or_b32 v16, v35, 16, v16
                                        ; implicit-def: $vgpr35
; %bb.20:                               ;   in Loop: Header=BB11_18 Depth=4
	s_andn2_saveexec_b64 s[2:3], s[2:3]
	s_cbranch_execz .LBB11_17
; %bb.21:                               ;   in Loop: Header=BB11_18 Depth=4
	v_and_or_b32 v16, v17, s15, v35
	s_branch .LBB11_17
.LBB11_22:                              ;   in Loop: Header=BB11_10 Depth=3
	s_or_b64 exec, exec, s[12:13]
	v_add_co_u32_e32 v8, vcc, v32, v10
	v_addc_co_u32_e32 v15, vcc, v33, v11, vcc
	v_and_b32_e32 v14, -3, v8
	global_load_dword v17, v[14:15], off
	;; [unrolled: 52-line block ×3, first 2 shown]
	v_mul_f32_e32 v16, v34, v23
	v_bfe_u32 v32, v16, 16, 1
	v_add3_u32 v32, v16, v32, s14
	v_and_b32_e32 v32, 0xffff0000, v32
	v_and_b32_e32 v8, 2, v8
	v_cmp_o_f32_e64 s[2:3], v16, v16
	s_mov_b64 s[12:13], 0
	v_cmp_eq_u64_e32 vcc, 0, v[8:9]
	v_cmp_ne_u32_e64 s[0:1], 0, v8
	v_cndmask_b32_e64 v8, v27, v32, s[2:3]
	s_branch .LBB11_30
.LBB11_29:                              ;   in Loop: Header=BB11_30 Depth=4
	s_or_b64 exec, exec, s[2:3]
	global_atomic_cmpswap v16, v[14:15], v[16:17], off glc
	s_waitcnt vmcnt(0)
	v_cmp_eq_u32_e64 s[2:3], v17, v16
	s_or_b64 s[12:13], s[2:3], s[12:13]
	v_mov_b32_e32 v17, v16
	s_andn2_b64 exec, exec, s[12:13]
	s_cbranch_execz .LBB11_9
.LBB11_30:                              ;   Parent Loop BB11_5 Depth=1
                                        ;     Parent Loop BB11_8 Depth=2
                                        ;       Parent Loop BB11_10 Depth=3
                                        ; =>      This Inner Loop Header: Depth=4
	s_waitcnt vmcnt(0)
	v_lshrrev_b32_e32 v16, 16, v17
	v_cndmask_b32_e32 v16, v16, v17, vcc
	v_lshlrev_b32_e32 v16, 16, v16
	v_add_f32_e32 v16, v8, v16
	v_bfe_u32 v32, v16, 16, 1
	v_add3_u32 v32, v16, v32, s14
	v_lshrrev_b32_e32 v32, 16, v32
	v_cmp_o_f32_e64 s[2:3], v16, v16
	v_cndmask_b32_e64 v32, v28, v32, s[2:3]
	s_and_saveexec_b64 s[2:3], s[0:1]
	s_xor_b64 s[2:3], exec, s[2:3]
; %bb.31:                               ;   in Loop: Header=BB11_30 Depth=4
	v_and_b32_e32 v16, 0xffff, v17
	v_lshl_or_b32 v16, v32, 16, v16
                                        ; implicit-def: $vgpr32
; %bb.32:                               ;   in Loop: Header=BB11_30 Depth=4
	s_andn2_saveexec_b64 s[2:3], s[2:3]
	s_cbranch_execz .LBB11_29
; %bb.33:                               ;   in Loop: Header=BB11_30 Depth=4
	v_and_or_b32 v16, v17, s15, v32
	s_branch .LBB11_29
.LBB11_34:
	s_mov_b64 s[6:7], 0
.LBB11_35:
	s_andn2_b64 vcc, exec, s[6:7]
	s_cbranch_vccnz .LBB11_41
; %bb.36:
	s_cmp_lt_i32 s8, 1
	s_cbranch_scc1 .LBB11_41
; %bb.37:
	s_load_dwordx8 s[12:19], s[4:5], 0x80
	s_load_dwordx2 s[0:1], s[4:5], 0x10
	s_load_dwordx8 s[20:27], s[4:5], 0x38
	s_load_dwordx2 s[2:3], s[4:5], 0x58
	v_ashrrev_i32_e32 v2, 31, v19
	s_waitcnt lgkmcnt(0)
	v_mul_lo_u32 v3, s17, v19
	v_mul_lo_u32 v4, s16, v2
	v_mad_u64_u32 v[0:1], s[4:5], s16, v19, 0
	v_add3_u32 v1, v1, v4, v3
	v_lshlrev_b64 v[0:1], 1, v[0:1]
	v_mov_b32_e32 v3, s3
	v_add_co_u32_e32 v4, vcc, s2, v0
	v_ashrrev_i32_e32 v5, 31, v18
	v_addc_co_u32_e32 v3, vcc, v3, v1, vcc
	v_mul_lo_u32 v6, s19, v18
	v_mul_lo_u32 v7, s18, v5
	v_mad_u64_u32 v[0:1], s[2:3], s18, v18, 0
	v_add3_u32 v1, v1, v7, v6
	v_lshlrev_b64 v[0:1], 1, v[0:1]
	v_add_co_u32_e32 v0, vcc, v4, v0
	v_addc_co_u32_e32 v1, vcc, v3, v1, vcc
	v_mul_lo_u32 v4, s25, v19
	v_mul_lo_u32 v6, s24, v2
	v_mad_u64_u32 v[2:3], s[2:3], s24, v19, 0
	v_add3_u32 v3, v3, v6, v4
	v_lshlrev_b64 v[2:3], 1, v[2:3]
	v_mov_b32_e32 v4, s1
	v_add_co_u32_e32 v6, vcc, s0, v2
	v_addc_co_u32_e32 v4, vcc, v4, v3, vcc
	v_mul_lo_u32 v7, s27, v18
	v_mul_lo_u32 v5, s26, v5
	v_mad_u64_u32 v[2:3], s[0:1], s26, v18, 0
	v_add3_u32 v3, v3, v5, v7
	s_cmp_gt_i32 s10, 0
	v_lshlrev_b64 v[2:3], 1, v[2:3]
	v_add_co_u32_e32 v2, vcc, v6, v2
	s_cselect_b64 s[0:1], -1, 0
	v_addc_co_u32_e32 v3, vcc, v4, v3, vcc
	s_lshl_b64 s[2:3], s[20:21], 1
	s_lshl_b64 s[6:7], s[12:13], 1
	v_cndmask_b32_e64 v4, 0, 1, s[0:1]
	s_mov_b32 s9, 0
	s_lshl_b64 s[4:5], s[22:23], 1
	s_lshl_b64 s[12:13], s[14:15], 1
	v_cmp_ne_u32_e64 s[0:1], 1, v4
	v_mov_b32_e32 v8, s3
	v_mov_b32_e32 v9, s7
	s_branch .LBB11_39
.LBB11_38:                              ;   in Loop: Header=BB11_39 Depth=1
	v_add_co_u32_e32 v2, vcc, s2, v2
	v_addc_co_u32_e32 v3, vcc, v3, v8, vcc
	s_add_i32 s9, s9, 1
	v_add_co_u32_e32 v0, vcc, s6, v0
	s_cmp_eq_u32 s9, s8
	v_addc_co_u32_e32 v1, vcc, v1, v9, vcc
	s_cbranch_scc1 .LBB11_41
.LBB11_39:                              ; =>This Loop Header: Depth=1
                                        ;     Child Loop BB11_40 Depth 2
	s_and_b64 vcc, exec, s[0:1]
	v_pk_mov_b32 v[4:5], v[0:1], v[0:1] op_sel:[0,1]
	v_pk_mov_b32 v[6:7], v[2:3], v[2:3] op_sel:[0,1]
	s_mov_b32 s3, s10
	s_cbranch_vccnz .LBB11_38
.LBB11_40:                              ;   Parent Loop BB11_39 Depth=1
                                        ; =>  This Inner Loop Header: Depth=2
	global_load_ushort v10, v[4:5], off
	v_mov_b32_e32 v12, s13
	v_add_co_u32_e32 v4, vcc, s12, v4
	v_addc_co_u32_e32 v5, vcc, v5, v12, vcc
	s_add_i32 s3, s3, -1
	v_mov_b32_e32 v11, s5
	s_cmp_eq_u32 s3, 0
	s_waitcnt vmcnt(0)
	global_store_short v[6:7], v10, off
	v_add_co_u32_e32 v6, vcc, s4, v6
	v_addc_co_u32_e32 v7, vcc, v7, v11, vcc
	s_cbranch_scc0 .LBB11_40
	s_branch .LBB11_38
.LBB11_41:
	s_endpgm
	.section	.rodata,"a",@progbits
	.p2align	6, 0x0
	.amdhsa_kernel _ZN2at6native12_GLOBAL__N_137upsample_bicubic2d_backward_out_frameIN3c108BFloat16EfEEviT0_S5_bN5torch10headeronly6detail27GenericPackedTensorAccessorINS8_14TensorAccessorINS3_8ArrayRefIlEET_Lm3ENS7_16DefaultPtrTraitsElEENS_6detail16IndexBoundsCheckILm4ElEESD_Lm4ESE_lEENS9_INSA_ISC_KSD_Lm3ESE_lEESI_SK_Lm4ESE_lEE
		.amdhsa_group_segment_fixed_size 0
		.amdhsa_private_segment_fixed_size 0
		.amdhsa_kernarg_size 416
		.amdhsa_user_sgpr_count 6
		.amdhsa_user_sgpr_private_segment_buffer 1
		.amdhsa_user_sgpr_dispatch_ptr 0
		.amdhsa_user_sgpr_queue_ptr 0
		.amdhsa_user_sgpr_kernarg_segment_ptr 1
		.amdhsa_user_sgpr_dispatch_id 0
		.amdhsa_user_sgpr_flat_scratch_init 0
		.amdhsa_user_sgpr_kernarg_preload_length 0
		.amdhsa_user_sgpr_kernarg_preload_offset 0
		.amdhsa_user_sgpr_private_segment_size 0
		.amdhsa_uses_dynamic_stack 0
		.amdhsa_system_sgpr_private_segment_wavefront_offset 0
		.amdhsa_system_sgpr_workgroup_id_x 1
		.amdhsa_system_sgpr_workgroup_id_y 0
		.amdhsa_system_sgpr_workgroup_id_z 0
		.amdhsa_system_sgpr_workgroup_info 0
		.amdhsa_system_vgpr_workitem_id 0
		.amdhsa_next_free_vgpr 36
		.amdhsa_next_free_sgpr 36
		.amdhsa_accum_offset 36
		.amdhsa_reserve_vcc 1
		.amdhsa_reserve_flat_scratch 0
		.amdhsa_float_round_mode_32 0
		.amdhsa_float_round_mode_16_64 0
		.amdhsa_float_denorm_mode_32 3
		.amdhsa_float_denorm_mode_16_64 3
		.amdhsa_dx10_clamp 1
		.amdhsa_ieee_mode 1
		.amdhsa_fp16_overflow 0
		.amdhsa_tg_split 0
		.amdhsa_exception_fp_ieee_invalid_op 0
		.amdhsa_exception_fp_denorm_src 0
		.amdhsa_exception_fp_ieee_div_zero 0
		.amdhsa_exception_fp_ieee_overflow 0
		.amdhsa_exception_fp_ieee_underflow 0
		.amdhsa_exception_fp_ieee_inexact 0
		.amdhsa_exception_int_div_zero 0
	.end_amdhsa_kernel
	.section	.text._ZN2at6native12_GLOBAL__N_137upsample_bicubic2d_backward_out_frameIN3c108BFloat16EfEEviT0_S5_bN5torch10headeronly6detail27GenericPackedTensorAccessorINS8_14TensorAccessorINS3_8ArrayRefIlEET_Lm3ENS7_16DefaultPtrTraitsElEENS_6detail16IndexBoundsCheckILm4ElEESD_Lm4ESE_lEENS9_INSA_ISC_KSD_Lm3ESE_lEESI_SK_Lm4ESE_lEE,"axG",@progbits,_ZN2at6native12_GLOBAL__N_137upsample_bicubic2d_backward_out_frameIN3c108BFloat16EfEEviT0_S5_bN5torch10headeronly6detail27GenericPackedTensorAccessorINS8_14TensorAccessorINS3_8ArrayRefIlEET_Lm3ENS7_16DefaultPtrTraitsElEENS_6detail16IndexBoundsCheckILm4ElEESD_Lm4ESE_lEENS9_INSA_ISC_KSD_Lm3ESE_lEESI_SK_Lm4ESE_lEE,comdat
.Lfunc_end11:
	.size	_ZN2at6native12_GLOBAL__N_137upsample_bicubic2d_backward_out_frameIN3c108BFloat16EfEEviT0_S5_bN5torch10headeronly6detail27GenericPackedTensorAccessorINS8_14TensorAccessorINS3_8ArrayRefIlEET_Lm3ENS7_16DefaultPtrTraitsElEENS_6detail16IndexBoundsCheckILm4ElEESD_Lm4ESE_lEENS9_INSA_ISC_KSD_Lm3ESE_lEESI_SK_Lm4ESE_lEE, .Lfunc_end11-_ZN2at6native12_GLOBAL__N_137upsample_bicubic2d_backward_out_frameIN3c108BFloat16EfEEviT0_S5_bN5torch10headeronly6detail27GenericPackedTensorAccessorINS8_14TensorAccessorINS3_8ArrayRefIlEET_Lm3ENS7_16DefaultPtrTraitsElEENS_6detail16IndexBoundsCheckILm4ElEESD_Lm4ESE_lEENS9_INSA_ISC_KSD_Lm3ESE_lEESI_SK_Lm4ESE_lEE
                                        ; -- End function
	.section	.AMDGPU.csdata,"",@progbits
; Kernel info:
; codeLenInByte = 2640
; NumSgprs: 40
; NumVgprs: 36
; NumAgprs: 0
; TotalNumVgprs: 36
; ScratchSize: 0
; MemoryBound: 0
; FloatMode: 240
; IeeeMode: 1
; LDSByteSize: 0 bytes/workgroup (compile time only)
; SGPRBlocks: 4
; VGPRBlocks: 4
; NumSGPRsForWavesPerEU: 40
; NumVGPRsForWavesPerEU: 36
; AccumOffset: 36
; Occupancy: 8
; WaveLimiterHint : 1
; COMPUTE_PGM_RSRC2:SCRATCH_EN: 0
; COMPUTE_PGM_RSRC2:USER_SGPR: 6
; COMPUTE_PGM_RSRC2:TRAP_HANDLER: 0
; COMPUTE_PGM_RSRC2:TGID_X_EN: 1
; COMPUTE_PGM_RSRC2:TGID_Y_EN: 0
; COMPUTE_PGM_RSRC2:TGID_Z_EN: 0
; COMPUTE_PGM_RSRC2:TIDIG_COMP_CNT: 0
; COMPUTE_PGM_RSRC3_GFX90A:ACCUM_OFFSET: 8
; COMPUTE_PGM_RSRC3_GFX90A:TG_SPLIT: 0
	.text
	.p2alignl 6, 3212836864
	.fill 256, 4, 3212836864
	.type	__hip_cuid_ca82143982f0bd1,@object ; @__hip_cuid_ca82143982f0bd1
	.section	.bss,"aw",@nobits
	.globl	__hip_cuid_ca82143982f0bd1
__hip_cuid_ca82143982f0bd1:
	.byte	0                               ; 0x0
	.size	__hip_cuid_ca82143982f0bd1, 1

	.ident	"AMD clang version 19.0.0git (https://github.com/RadeonOpenCompute/llvm-project roc-6.4.0 25133 c7fe45cf4b819c5991fe208aaa96edf142730f1d)"
	.section	".note.GNU-stack","",@progbits
	.addrsig
	.addrsig_sym __hip_cuid_ca82143982f0bd1
	.amdgpu_metadata
---
amdhsa.kernels:
  - .agpr_count:     0
    .args:
      - .offset:         0
        .size:           4
        .value_kind:     by_value
      - .offset:         8
        .size:           8
        .value_kind:     by_value
      - .offset:         16
        .size:           8
        .value_kind:     by_value
      - .offset:         24
        .size:           1
        .value_kind:     by_value
      - .offset:         32
        .size:           72
        .value_kind:     by_value
      - .offset:         104
        .size:           72
        .value_kind:     by_value
      - .offset:         176
        .size:           4
        .value_kind:     hidden_block_count_x
      - .offset:         180
        .size:           4
        .value_kind:     hidden_block_count_y
      - .offset:         184
        .size:           4
        .value_kind:     hidden_block_count_z
      - .offset:         188
        .size:           2
        .value_kind:     hidden_group_size_x
      - .offset:         190
        .size:           2
        .value_kind:     hidden_group_size_y
      - .offset:         192
        .size:           2
        .value_kind:     hidden_group_size_z
      - .offset:         194
        .size:           2
        .value_kind:     hidden_remainder_x
      - .offset:         196
        .size:           2
        .value_kind:     hidden_remainder_y
      - .offset:         198
        .size:           2
        .value_kind:     hidden_remainder_z
      - .offset:         216
        .size:           8
        .value_kind:     hidden_global_offset_x
      - .offset:         224
        .size:           8
        .value_kind:     hidden_global_offset_y
      - .offset:         232
        .size:           8
        .value_kind:     hidden_global_offset_z
      - .offset:         240
        .size:           2
        .value_kind:     hidden_grid_dims
    .group_segment_fixed_size: 0
    .kernarg_segment_align: 8
    .kernarg_segment_size: 432
    .language:       OpenCL C
    .language_version:
      - 2
      - 0
    .max_flat_workgroup_size: 1024
    .name:           _ZN2at6native12_GLOBAL__N_137upsample_bicubic2d_out_frame_parallelIddEEviT0_S3_bN5torch10headeronly6detail27GenericPackedTensorAccessorINS6_14TensorAccessorIN3c108ArrayRefIlEEKT_Lm3ENS5_16DefaultPtrTraitsElEENS_6detail16IndexBoundsCheckILm4ElEESD_Lm4ESE_lEENS7_INS8_ISB_SC_Lm3ESE_lEESI_SC_Lm4ESE_lEE
    .private_segment_fixed_size: 0
    .sgpr_count:     50
    .sgpr_spill_count: 0
    .symbol:         _ZN2at6native12_GLOBAL__N_137upsample_bicubic2d_out_frame_parallelIddEEviT0_S3_bN5torch10headeronly6detail27GenericPackedTensorAccessorINS6_14TensorAccessorIN3c108ArrayRefIlEEKT_Lm3ENS5_16DefaultPtrTraitsElEENS_6detail16IndexBoundsCheckILm4ElEESD_Lm4ESE_lEENS7_INS8_ISB_SC_Lm3ESE_lEESI_SC_Lm4ESE_lEE.kd
    .uniform_work_group_size: 1
    .uses_dynamic_stack: false
    .vgpr_count:     62
    .vgpr_spill_count: 0
    .wavefront_size: 64
  - .agpr_count:     0
    .args:
      - .offset:         0
        .size:           4
        .value_kind:     by_value
      - .offset:         8
        .size:           8
        .value_kind:     by_value
      - .offset:         16
        .size:           8
        .value_kind:     by_value
      - .offset:         24
        .size:           1
        .value_kind:     by_value
      - .offset:         32
        .size:           72
        .value_kind:     by_value
      - .offset:         104
        .size:           72
        .value_kind:     by_value
      - .offset:         176
        .size:           4
        .value_kind:     hidden_block_count_x
      - .offset:         180
        .size:           4
        .value_kind:     hidden_block_count_y
      - .offset:         184
        .size:           4
        .value_kind:     hidden_block_count_z
      - .offset:         188
        .size:           2
        .value_kind:     hidden_group_size_x
      - .offset:         190
        .size:           2
        .value_kind:     hidden_group_size_y
      - .offset:         192
        .size:           2
        .value_kind:     hidden_group_size_z
      - .offset:         194
        .size:           2
        .value_kind:     hidden_remainder_x
      - .offset:         196
        .size:           2
        .value_kind:     hidden_remainder_y
      - .offset:         198
        .size:           2
        .value_kind:     hidden_remainder_z
      - .offset:         216
        .size:           8
        .value_kind:     hidden_global_offset_x
      - .offset:         224
        .size:           8
        .value_kind:     hidden_global_offset_y
      - .offset:         232
        .size:           8
        .value_kind:     hidden_global_offset_z
      - .offset:         240
        .size:           2
        .value_kind:     hidden_grid_dims
    .group_segment_fixed_size: 0
    .kernarg_segment_align: 8
    .kernarg_segment_size: 432
    .language:       OpenCL C
    .language_version:
      - 2
      - 0
    .max_flat_workgroup_size: 1024
    .name:           _ZN2at6native12_GLOBAL__N_128upsample_bicubic2d_out_frameIddEEviT0_S3_bN5torch10headeronly6detail27GenericPackedTensorAccessorINS6_14TensorAccessorIN3c108ArrayRefIlEEKT_Lm3ENS5_16DefaultPtrTraitsElEENS_6detail16IndexBoundsCheckILm4ElEESD_Lm4ESE_lEENS7_INS8_ISB_SC_Lm3ESE_lEESI_SC_Lm4ESE_lEE
    .private_segment_fixed_size: 0
    .sgpr_count:     50
    .sgpr_spill_count: 0
    .symbol:         _ZN2at6native12_GLOBAL__N_128upsample_bicubic2d_out_frameIddEEviT0_S3_bN5torch10headeronly6detail27GenericPackedTensorAccessorINS6_14TensorAccessorIN3c108ArrayRefIlEEKT_Lm3ENS5_16DefaultPtrTraitsElEENS_6detail16IndexBoundsCheckILm4ElEESD_Lm4ESE_lEENS7_INS8_ISB_SC_Lm3ESE_lEESI_SC_Lm4ESE_lEE.kd
    .uniform_work_group_size: 1
    .uses_dynamic_stack: false
    .vgpr_count:     80
    .vgpr_spill_count: 0
    .wavefront_size: 64
  - .agpr_count:     0
    .args:
      - .offset:         0
        .size:           4
        .value_kind:     by_value
      - .offset:         4
        .size:           4
        .value_kind:     by_value
      - .offset:         8
        .size:           4
        .value_kind:     by_value
      - .offset:         12
        .size:           1
        .value_kind:     by_value
      - .offset:         16
        .size:           72
        .value_kind:     by_value
      - .offset:         88
        .size:           72
        .value_kind:     by_value
      - .offset:         160
        .size:           4
        .value_kind:     hidden_block_count_x
      - .offset:         164
        .size:           4
        .value_kind:     hidden_block_count_y
      - .offset:         168
        .size:           4
        .value_kind:     hidden_block_count_z
      - .offset:         172
        .size:           2
        .value_kind:     hidden_group_size_x
      - .offset:         174
        .size:           2
        .value_kind:     hidden_group_size_y
      - .offset:         176
        .size:           2
        .value_kind:     hidden_group_size_z
      - .offset:         178
        .size:           2
        .value_kind:     hidden_remainder_x
      - .offset:         180
        .size:           2
        .value_kind:     hidden_remainder_y
      - .offset:         182
        .size:           2
        .value_kind:     hidden_remainder_z
      - .offset:         200
        .size:           8
        .value_kind:     hidden_global_offset_x
      - .offset:         208
        .size:           8
        .value_kind:     hidden_global_offset_y
      - .offset:         216
        .size:           8
        .value_kind:     hidden_global_offset_z
      - .offset:         224
        .size:           2
        .value_kind:     hidden_grid_dims
    .group_segment_fixed_size: 0
    .kernarg_segment_align: 8
    .kernarg_segment_size: 416
    .language:       OpenCL C
    .language_version:
      - 2
      - 0
    .max_flat_workgroup_size: 1024
    .name:           _ZN2at6native12_GLOBAL__N_137upsample_bicubic2d_out_frame_parallelIffEEviT0_S3_bN5torch10headeronly6detail27GenericPackedTensorAccessorINS6_14TensorAccessorIN3c108ArrayRefIlEEKT_Lm3ENS5_16DefaultPtrTraitsElEENS_6detail16IndexBoundsCheckILm4ElEESD_Lm4ESE_lEENS7_INS8_ISB_SC_Lm3ESE_lEESI_SC_Lm4ESE_lEE
    .private_segment_fixed_size: 0
    .sgpr_count:     60
    .sgpr_spill_count: 0
    .symbol:         _ZN2at6native12_GLOBAL__N_137upsample_bicubic2d_out_frame_parallelIffEEviT0_S3_bN5torch10headeronly6detail27GenericPackedTensorAccessorINS6_14TensorAccessorIN3c108ArrayRefIlEEKT_Lm3ENS5_16DefaultPtrTraitsElEENS_6detail16IndexBoundsCheckILm4ElEESD_Lm4ESE_lEENS7_INS8_ISB_SC_Lm3ESE_lEESI_SC_Lm4ESE_lEE.kd
    .uniform_work_group_size: 1
    .uses_dynamic_stack: false
    .vgpr_count:     66
    .vgpr_spill_count: 0
    .wavefront_size: 64
  - .agpr_count:     0
    .args:
      - .offset:         0
        .size:           4
        .value_kind:     by_value
      - .offset:         4
        .size:           4
        .value_kind:     by_value
      - .offset:         8
        .size:           4
        .value_kind:     by_value
      - .offset:         12
        .size:           1
        .value_kind:     by_value
      - .offset:         16
        .size:           72
        .value_kind:     by_value
      - .offset:         88
        .size:           72
        .value_kind:     by_value
      - .offset:         160
        .size:           4
        .value_kind:     hidden_block_count_x
      - .offset:         164
        .size:           4
        .value_kind:     hidden_block_count_y
      - .offset:         168
        .size:           4
        .value_kind:     hidden_block_count_z
      - .offset:         172
        .size:           2
        .value_kind:     hidden_group_size_x
      - .offset:         174
        .size:           2
        .value_kind:     hidden_group_size_y
      - .offset:         176
        .size:           2
        .value_kind:     hidden_group_size_z
      - .offset:         178
        .size:           2
        .value_kind:     hidden_remainder_x
      - .offset:         180
        .size:           2
        .value_kind:     hidden_remainder_y
      - .offset:         182
        .size:           2
        .value_kind:     hidden_remainder_z
      - .offset:         200
        .size:           8
        .value_kind:     hidden_global_offset_x
      - .offset:         208
        .size:           8
        .value_kind:     hidden_global_offset_y
      - .offset:         216
        .size:           8
        .value_kind:     hidden_global_offset_z
      - .offset:         224
        .size:           2
        .value_kind:     hidden_grid_dims
    .group_segment_fixed_size: 0
    .kernarg_segment_align: 8
    .kernarg_segment_size: 416
    .language:       OpenCL C
    .language_version:
      - 2
      - 0
    .max_flat_workgroup_size: 1024
    .name:           _ZN2at6native12_GLOBAL__N_128upsample_bicubic2d_out_frameIffEEviT0_S3_bN5torch10headeronly6detail27GenericPackedTensorAccessorINS6_14TensorAccessorIN3c108ArrayRefIlEEKT_Lm3ENS5_16DefaultPtrTraitsElEENS_6detail16IndexBoundsCheckILm4ElEESD_Lm4ESE_lEENS7_INS8_ISB_SC_Lm3ESE_lEESI_SC_Lm4ESE_lEE
    .private_segment_fixed_size: 0
    .sgpr_count:     58
    .sgpr_spill_count: 0
    .symbol:         _ZN2at6native12_GLOBAL__N_128upsample_bicubic2d_out_frameIffEEviT0_S3_bN5torch10headeronly6detail27GenericPackedTensorAccessorINS6_14TensorAccessorIN3c108ArrayRefIlEEKT_Lm3ENS5_16DefaultPtrTraitsElEENS_6detail16IndexBoundsCheckILm4ElEESD_Lm4ESE_lEENS7_INS8_ISB_SC_Lm3ESE_lEESI_SC_Lm4ESE_lEE.kd
    .uniform_work_group_size: 1
    .uses_dynamic_stack: false
    .vgpr_count:     78
    .vgpr_spill_count: 0
    .wavefront_size: 64
  - .agpr_count:     0
    .args:
      - .offset:         0
        .size:           4
        .value_kind:     by_value
      - .offset:         4
        .size:           4
        .value_kind:     by_value
      - .offset:         8
        .size:           4
        .value_kind:     by_value
      - .offset:         12
        .size:           1
        .value_kind:     by_value
      - .offset:         16
        .size:           72
        .value_kind:     by_value
      - .offset:         88
        .size:           72
        .value_kind:     by_value
      - .offset:         160
        .size:           4
        .value_kind:     hidden_block_count_x
      - .offset:         164
        .size:           4
        .value_kind:     hidden_block_count_y
      - .offset:         168
        .size:           4
        .value_kind:     hidden_block_count_z
      - .offset:         172
        .size:           2
        .value_kind:     hidden_group_size_x
      - .offset:         174
        .size:           2
        .value_kind:     hidden_group_size_y
      - .offset:         176
        .size:           2
        .value_kind:     hidden_group_size_z
      - .offset:         178
        .size:           2
        .value_kind:     hidden_remainder_x
      - .offset:         180
        .size:           2
        .value_kind:     hidden_remainder_y
      - .offset:         182
        .size:           2
        .value_kind:     hidden_remainder_z
      - .offset:         200
        .size:           8
        .value_kind:     hidden_global_offset_x
      - .offset:         208
        .size:           8
        .value_kind:     hidden_global_offset_y
      - .offset:         216
        .size:           8
        .value_kind:     hidden_global_offset_z
      - .offset:         224
        .size:           2
        .value_kind:     hidden_grid_dims
    .group_segment_fixed_size: 0
    .kernarg_segment_align: 8
    .kernarg_segment_size: 416
    .language:       OpenCL C
    .language_version:
      - 2
      - 0
    .max_flat_workgroup_size: 1024
    .name:           _ZN2at6native12_GLOBAL__N_137upsample_bicubic2d_out_frame_parallelIN3c104HalfEfEEviT0_S5_bN5torch10headeronly6detail27GenericPackedTensorAccessorINS8_14TensorAccessorINS3_8ArrayRefIlEEKT_Lm3ENS7_16DefaultPtrTraitsElEENS_6detail16IndexBoundsCheckILm4ElEESE_Lm4ESF_lEENS9_INSA_ISC_SD_Lm3ESF_lEESJ_SD_Lm4ESF_lEE
    .private_segment_fixed_size: 0
    .sgpr_count:     60
    .sgpr_spill_count: 0
    .symbol:         _ZN2at6native12_GLOBAL__N_137upsample_bicubic2d_out_frame_parallelIN3c104HalfEfEEviT0_S5_bN5torch10headeronly6detail27GenericPackedTensorAccessorINS8_14TensorAccessorINS3_8ArrayRefIlEEKT_Lm3ENS7_16DefaultPtrTraitsElEENS_6detail16IndexBoundsCheckILm4ElEESE_Lm4ESF_lEENS9_INSA_ISC_SD_Lm3ESF_lEESJ_SD_Lm4ESF_lEE.kd
    .uniform_work_group_size: 1
    .uses_dynamic_stack: false
    .vgpr_count:     66
    .vgpr_spill_count: 0
    .wavefront_size: 64
  - .agpr_count:     0
    .args:
      - .offset:         0
        .size:           4
        .value_kind:     by_value
      - .offset:         4
        .size:           4
        .value_kind:     by_value
      - .offset:         8
        .size:           4
        .value_kind:     by_value
      - .offset:         12
        .size:           1
        .value_kind:     by_value
      - .offset:         16
        .size:           72
        .value_kind:     by_value
      - .offset:         88
        .size:           72
        .value_kind:     by_value
      - .offset:         160
        .size:           4
        .value_kind:     hidden_block_count_x
      - .offset:         164
        .size:           4
        .value_kind:     hidden_block_count_y
      - .offset:         168
        .size:           4
        .value_kind:     hidden_block_count_z
      - .offset:         172
        .size:           2
        .value_kind:     hidden_group_size_x
      - .offset:         174
        .size:           2
        .value_kind:     hidden_group_size_y
      - .offset:         176
        .size:           2
        .value_kind:     hidden_group_size_z
      - .offset:         178
        .size:           2
        .value_kind:     hidden_remainder_x
      - .offset:         180
        .size:           2
        .value_kind:     hidden_remainder_y
      - .offset:         182
        .size:           2
        .value_kind:     hidden_remainder_z
      - .offset:         200
        .size:           8
        .value_kind:     hidden_global_offset_x
      - .offset:         208
        .size:           8
        .value_kind:     hidden_global_offset_y
      - .offset:         216
        .size:           8
        .value_kind:     hidden_global_offset_z
      - .offset:         224
        .size:           2
        .value_kind:     hidden_grid_dims
    .group_segment_fixed_size: 0
    .kernarg_segment_align: 8
    .kernarg_segment_size: 416
    .language:       OpenCL C
    .language_version:
      - 2
      - 0
    .max_flat_workgroup_size: 1024
    .name:           _ZN2at6native12_GLOBAL__N_128upsample_bicubic2d_out_frameIN3c104HalfEfEEviT0_S5_bN5torch10headeronly6detail27GenericPackedTensorAccessorINS8_14TensorAccessorINS3_8ArrayRefIlEEKT_Lm3ENS7_16DefaultPtrTraitsElEENS_6detail16IndexBoundsCheckILm4ElEESE_Lm4ESF_lEENS9_INSA_ISC_SD_Lm3ESF_lEESJ_SD_Lm4ESF_lEE
    .private_segment_fixed_size: 0
    .sgpr_count:     58
    .sgpr_spill_count: 0
    .symbol:         _ZN2at6native12_GLOBAL__N_128upsample_bicubic2d_out_frameIN3c104HalfEfEEviT0_S5_bN5torch10headeronly6detail27GenericPackedTensorAccessorINS8_14TensorAccessorINS3_8ArrayRefIlEEKT_Lm3ENS7_16DefaultPtrTraitsElEENS_6detail16IndexBoundsCheckILm4ElEESE_Lm4ESF_lEENS9_INSA_ISC_SD_Lm3ESF_lEESJ_SD_Lm4ESF_lEE.kd
    .uniform_work_group_size: 1
    .uses_dynamic_stack: false
    .vgpr_count:     78
    .vgpr_spill_count: 0
    .wavefront_size: 64
  - .agpr_count:     0
    .args:
      - .offset:         0
        .size:           4
        .value_kind:     by_value
      - .offset:         4
        .size:           4
        .value_kind:     by_value
      - .offset:         8
        .size:           4
        .value_kind:     by_value
      - .offset:         12
        .size:           1
        .value_kind:     by_value
      - .offset:         16
        .size:           72
        .value_kind:     by_value
      - .offset:         88
        .size:           72
        .value_kind:     by_value
      - .offset:         160
        .size:           4
        .value_kind:     hidden_block_count_x
      - .offset:         164
        .size:           4
        .value_kind:     hidden_block_count_y
      - .offset:         168
        .size:           4
        .value_kind:     hidden_block_count_z
      - .offset:         172
        .size:           2
        .value_kind:     hidden_group_size_x
      - .offset:         174
        .size:           2
        .value_kind:     hidden_group_size_y
      - .offset:         176
        .size:           2
        .value_kind:     hidden_group_size_z
      - .offset:         178
        .size:           2
        .value_kind:     hidden_remainder_x
      - .offset:         180
        .size:           2
        .value_kind:     hidden_remainder_y
      - .offset:         182
        .size:           2
        .value_kind:     hidden_remainder_z
      - .offset:         200
        .size:           8
        .value_kind:     hidden_global_offset_x
      - .offset:         208
        .size:           8
        .value_kind:     hidden_global_offset_y
      - .offset:         216
        .size:           8
        .value_kind:     hidden_global_offset_z
      - .offset:         224
        .size:           2
        .value_kind:     hidden_grid_dims
    .group_segment_fixed_size: 0
    .kernarg_segment_align: 8
    .kernarg_segment_size: 416
    .language:       OpenCL C
    .language_version:
      - 2
      - 0
    .max_flat_workgroup_size: 1024
    .name:           _ZN2at6native12_GLOBAL__N_137upsample_bicubic2d_out_frame_parallelIN3c108BFloat16EfEEviT0_S5_bN5torch10headeronly6detail27GenericPackedTensorAccessorINS8_14TensorAccessorINS3_8ArrayRefIlEEKT_Lm3ENS7_16DefaultPtrTraitsElEENS_6detail16IndexBoundsCheckILm4ElEESE_Lm4ESF_lEENS9_INSA_ISC_SD_Lm3ESF_lEESJ_SD_Lm4ESF_lEE
    .private_segment_fixed_size: 0
    .sgpr_count:     65
    .sgpr_spill_count: 0
    .symbol:         _ZN2at6native12_GLOBAL__N_137upsample_bicubic2d_out_frame_parallelIN3c108BFloat16EfEEviT0_S5_bN5torch10headeronly6detail27GenericPackedTensorAccessorINS8_14TensorAccessorINS3_8ArrayRefIlEEKT_Lm3ENS7_16DefaultPtrTraitsElEENS_6detail16IndexBoundsCheckILm4ElEESE_Lm4ESF_lEENS9_INSA_ISC_SD_Lm3ESF_lEESJ_SD_Lm4ESF_lEE.kd
    .uniform_work_group_size: 1
    .uses_dynamic_stack: false
    .vgpr_count:     69
    .vgpr_spill_count: 0
    .wavefront_size: 64
  - .agpr_count:     0
    .args:
      - .offset:         0
        .size:           4
        .value_kind:     by_value
      - .offset:         4
        .size:           4
        .value_kind:     by_value
      - .offset:         8
        .size:           4
        .value_kind:     by_value
      - .offset:         12
        .size:           1
        .value_kind:     by_value
      - .offset:         16
        .size:           72
        .value_kind:     by_value
      - .offset:         88
        .size:           72
        .value_kind:     by_value
      - .offset:         160
        .size:           4
        .value_kind:     hidden_block_count_x
      - .offset:         164
        .size:           4
        .value_kind:     hidden_block_count_y
      - .offset:         168
        .size:           4
        .value_kind:     hidden_block_count_z
      - .offset:         172
        .size:           2
        .value_kind:     hidden_group_size_x
      - .offset:         174
        .size:           2
        .value_kind:     hidden_group_size_y
      - .offset:         176
        .size:           2
        .value_kind:     hidden_group_size_z
      - .offset:         178
        .size:           2
        .value_kind:     hidden_remainder_x
      - .offset:         180
        .size:           2
        .value_kind:     hidden_remainder_y
      - .offset:         182
        .size:           2
        .value_kind:     hidden_remainder_z
      - .offset:         200
        .size:           8
        .value_kind:     hidden_global_offset_x
      - .offset:         208
        .size:           8
        .value_kind:     hidden_global_offset_y
      - .offset:         216
        .size:           8
        .value_kind:     hidden_global_offset_z
      - .offset:         224
        .size:           2
        .value_kind:     hidden_grid_dims
    .group_segment_fixed_size: 0
    .kernarg_segment_align: 8
    .kernarg_segment_size: 416
    .language:       OpenCL C
    .language_version:
      - 2
      - 0
    .max_flat_workgroup_size: 1024
    .name:           _ZN2at6native12_GLOBAL__N_128upsample_bicubic2d_out_frameIN3c108BFloat16EfEEviT0_S5_bN5torch10headeronly6detail27GenericPackedTensorAccessorINS8_14TensorAccessorINS3_8ArrayRefIlEEKT_Lm3ENS7_16DefaultPtrTraitsElEENS_6detail16IndexBoundsCheckILm4ElEESE_Lm4ESF_lEENS9_INSA_ISC_SD_Lm3ESF_lEESJ_SD_Lm4ESF_lEE
    .private_segment_fixed_size: 0
    .sgpr_count:     54
    .sgpr_spill_count: 0
    .symbol:         _ZN2at6native12_GLOBAL__N_128upsample_bicubic2d_out_frameIN3c108BFloat16EfEEviT0_S5_bN5torch10headeronly6detail27GenericPackedTensorAccessorINS8_14TensorAccessorINS3_8ArrayRefIlEEKT_Lm3ENS7_16DefaultPtrTraitsElEENS_6detail16IndexBoundsCheckILm4ElEESE_Lm4ESF_lEENS9_INSA_ISC_SD_Lm3ESF_lEESJ_SD_Lm4ESF_lEE.kd
    .uniform_work_group_size: 1
    .uses_dynamic_stack: false
    .vgpr_count:     84
    .vgpr_spill_count: 0
    .wavefront_size: 64
  - .agpr_count:     0
    .args:
      - .offset:         0
        .size:           4
        .value_kind:     by_value
      - .offset:         8
        .size:           8
        .value_kind:     by_value
      - .offset:         16
        .size:           8
        .value_kind:     by_value
      - .offset:         24
        .size:           1
        .value_kind:     by_value
      - .offset:         32
        .size:           72
        .value_kind:     by_value
      - .offset:         104
        .size:           72
        .value_kind:     by_value
      - .offset:         176
        .size:           4
        .value_kind:     hidden_block_count_x
      - .offset:         180
        .size:           4
        .value_kind:     hidden_block_count_y
      - .offset:         184
        .size:           4
        .value_kind:     hidden_block_count_z
      - .offset:         188
        .size:           2
        .value_kind:     hidden_group_size_x
      - .offset:         190
        .size:           2
        .value_kind:     hidden_group_size_y
      - .offset:         192
        .size:           2
        .value_kind:     hidden_group_size_z
      - .offset:         194
        .size:           2
        .value_kind:     hidden_remainder_x
      - .offset:         196
        .size:           2
        .value_kind:     hidden_remainder_y
      - .offset:         198
        .size:           2
        .value_kind:     hidden_remainder_z
      - .offset:         216
        .size:           8
        .value_kind:     hidden_global_offset_x
      - .offset:         224
        .size:           8
        .value_kind:     hidden_global_offset_y
      - .offset:         232
        .size:           8
        .value_kind:     hidden_global_offset_z
      - .offset:         240
        .size:           2
        .value_kind:     hidden_grid_dims
    .group_segment_fixed_size: 0
    .kernarg_segment_align: 8
    .kernarg_segment_size: 432
    .language:       OpenCL C
    .language_version:
      - 2
      - 0
    .max_flat_workgroup_size: 1024
    .name:           _ZN2at6native12_GLOBAL__N_137upsample_bicubic2d_backward_out_frameIddEEviT0_S3_bN5torch10headeronly6detail27GenericPackedTensorAccessorINS6_14TensorAccessorIN3c108ArrayRefIlEET_Lm3ENS5_16DefaultPtrTraitsElEENS_6detail16IndexBoundsCheckILm4ElEESC_Lm4ESD_lEENS7_INS8_ISB_KSC_Lm3ESD_lEESH_SJ_Lm4ESD_lEE
    .private_segment_fixed_size: 0
    .sgpr_count:     36
    .sgpr_spill_count: 0
    .symbol:         _ZN2at6native12_GLOBAL__N_137upsample_bicubic2d_backward_out_frameIddEEviT0_S3_bN5torch10headeronly6detail27GenericPackedTensorAccessorINS6_14TensorAccessorIN3c108ArrayRefIlEET_Lm3ENS5_16DefaultPtrTraitsElEENS_6detail16IndexBoundsCheckILm4ElEESC_Lm4ESD_lEENS7_INS8_ISB_KSC_Lm3ESD_lEESH_SJ_Lm4ESD_lEE.kd
    .uniform_work_group_size: 1
    .uses_dynamic_stack: false
    .vgpr_count:     63
    .vgpr_spill_count: 0
    .wavefront_size: 64
  - .agpr_count:     0
    .args:
      - .offset:         0
        .size:           4
        .value_kind:     by_value
      - .offset:         4
        .size:           4
        .value_kind:     by_value
      - .offset:         8
        .size:           4
        .value_kind:     by_value
      - .offset:         12
        .size:           1
        .value_kind:     by_value
      - .offset:         16
        .size:           72
        .value_kind:     by_value
      - .offset:         88
        .size:           72
        .value_kind:     by_value
      - .offset:         160
        .size:           4
        .value_kind:     hidden_block_count_x
      - .offset:         164
        .size:           4
        .value_kind:     hidden_block_count_y
      - .offset:         168
        .size:           4
        .value_kind:     hidden_block_count_z
      - .offset:         172
        .size:           2
        .value_kind:     hidden_group_size_x
      - .offset:         174
        .size:           2
        .value_kind:     hidden_group_size_y
      - .offset:         176
        .size:           2
        .value_kind:     hidden_group_size_z
      - .offset:         178
        .size:           2
        .value_kind:     hidden_remainder_x
      - .offset:         180
        .size:           2
        .value_kind:     hidden_remainder_y
      - .offset:         182
        .size:           2
        .value_kind:     hidden_remainder_z
      - .offset:         200
        .size:           8
        .value_kind:     hidden_global_offset_x
      - .offset:         208
        .size:           8
        .value_kind:     hidden_global_offset_y
      - .offset:         216
        .size:           8
        .value_kind:     hidden_global_offset_z
      - .offset:         224
        .size:           2
        .value_kind:     hidden_grid_dims
    .group_segment_fixed_size: 0
    .kernarg_segment_align: 8
    .kernarg_segment_size: 416
    .language:       OpenCL C
    .language_version:
      - 2
      - 0
    .max_flat_workgroup_size: 1024
    .name:           _ZN2at6native12_GLOBAL__N_137upsample_bicubic2d_backward_out_frameIffEEviT0_S3_bN5torch10headeronly6detail27GenericPackedTensorAccessorINS6_14TensorAccessorIN3c108ArrayRefIlEET_Lm3ENS5_16DefaultPtrTraitsElEENS_6detail16IndexBoundsCheckILm4ElEESC_Lm4ESD_lEENS7_INS8_ISB_KSC_Lm3ESD_lEESH_SJ_Lm4ESD_lEE
    .private_segment_fixed_size: 0
    .sgpr_count:     40
    .sgpr_spill_count: 0
    .symbol:         _ZN2at6native12_GLOBAL__N_137upsample_bicubic2d_backward_out_frameIffEEviT0_S3_bN5torch10headeronly6detail27GenericPackedTensorAccessorINS6_14TensorAccessorIN3c108ArrayRefIlEET_Lm3ENS5_16DefaultPtrTraitsElEENS_6detail16IndexBoundsCheckILm4ElEESC_Lm4ESD_lEENS7_INS8_ISB_KSC_Lm3ESD_lEESH_SJ_Lm4ESD_lEE.kd
    .uniform_work_group_size: 1
    .uses_dynamic_stack: false
    .vgpr_count:     57
    .vgpr_spill_count: 0
    .wavefront_size: 64
  - .agpr_count:     0
    .args:
      - .offset:         0
        .size:           4
        .value_kind:     by_value
      - .offset:         4
        .size:           4
        .value_kind:     by_value
      - .offset:         8
        .size:           4
        .value_kind:     by_value
      - .offset:         12
        .size:           1
        .value_kind:     by_value
      - .offset:         16
        .size:           72
        .value_kind:     by_value
      - .offset:         88
        .size:           72
        .value_kind:     by_value
      - .offset:         160
        .size:           4
        .value_kind:     hidden_block_count_x
      - .offset:         164
        .size:           4
        .value_kind:     hidden_block_count_y
      - .offset:         168
        .size:           4
        .value_kind:     hidden_block_count_z
      - .offset:         172
        .size:           2
        .value_kind:     hidden_group_size_x
      - .offset:         174
        .size:           2
        .value_kind:     hidden_group_size_y
      - .offset:         176
        .size:           2
        .value_kind:     hidden_group_size_z
      - .offset:         178
        .size:           2
        .value_kind:     hidden_remainder_x
      - .offset:         180
        .size:           2
        .value_kind:     hidden_remainder_y
      - .offset:         182
        .size:           2
        .value_kind:     hidden_remainder_z
      - .offset:         200
        .size:           8
        .value_kind:     hidden_global_offset_x
      - .offset:         208
        .size:           8
        .value_kind:     hidden_global_offset_y
      - .offset:         216
        .size:           8
        .value_kind:     hidden_global_offset_z
      - .offset:         224
        .size:           2
        .value_kind:     hidden_grid_dims
    .group_segment_fixed_size: 0
    .kernarg_segment_align: 8
    .kernarg_segment_size: 416
    .language:       OpenCL C
    .language_version:
      - 2
      - 0
    .max_flat_workgroup_size: 1024
    .name:           _ZN2at6native12_GLOBAL__N_137upsample_bicubic2d_backward_out_frameIN3c104HalfEfEEviT0_S5_bN5torch10headeronly6detail27GenericPackedTensorAccessorINS8_14TensorAccessorINS3_8ArrayRefIlEET_Lm3ENS7_16DefaultPtrTraitsElEENS_6detail16IndexBoundsCheckILm4ElEESD_Lm4ESE_lEENS9_INSA_ISC_KSD_Lm3ESE_lEESI_SK_Lm4ESE_lEE
    .private_segment_fixed_size: 0
    .sgpr_count:     40
    .sgpr_spill_count: 0
    .symbol:         _ZN2at6native12_GLOBAL__N_137upsample_bicubic2d_backward_out_frameIN3c104HalfEfEEviT0_S5_bN5torch10headeronly6detail27GenericPackedTensorAccessorINS8_14TensorAccessorINS3_8ArrayRefIlEET_Lm3ENS7_16DefaultPtrTraitsElEENS_6detail16IndexBoundsCheckILm4ElEESD_Lm4ESE_lEENS9_INSA_ISC_KSD_Lm3ESE_lEESI_SK_Lm4ESE_lEE.kd
    .uniform_work_group_size: 1
    .uses_dynamic_stack: false
    .vgpr_count:     34
    .vgpr_spill_count: 0
    .wavefront_size: 64
  - .agpr_count:     0
    .args:
      - .offset:         0
        .size:           4
        .value_kind:     by_value
      - .offset:         4
        .size:           4
        .value_kind:     by_value
      - .offset:         8
        .size:           4
        .value_kind:     by_value
      - .offset:         12
        .size:           1
        .value_kind:     by_value
      - .offset:         16
        .size:           72
        .value_kind:     by_value
      - .offset:         88
        .size:           72
        .value_kind:     by_value
      - .offset:         160
        .size:           4
        .value_kind:     hidden_block_count_x
      - .offset:         164
        .size:           4
        .value_kind:     hidden_block_count_y
      - .offset:         168
        .size:           4
        .value_kind:     hidden_block_count_z
      - .offset:         172
        .size:           2
        .value_kind:     hidden_group_size_x
      - .offset:         174
        .size:           2
        .value_kind:     hidden_group_size_y
      - .offset:         176
        .size:           2
        .value_kind:     hidden_group_size_z
      - .offset:         178
        .size:           2
        .value_kind:     hidden_remainder_x
      - .offset:         180
        .size:           2
        .value_kind:     hidden_remainder_y
      - .offset:         182
        .size:           2
        .value_kind:     hidden_remainder_z
      - .offset:         200
        .size:           8
        .value_kind:     hidden_global_offset_x
      - .offset:         208
        .size:           8
        .value_kind:     hidden_global_offset_y
      - .offset:         216
        .size:           8
        .value_kind:     hidden_global_offset_z
      - .offset:         224
        .size:           2
        .value_kind:     hidden_grid_dims
    .group_segment_fixed_size: 0
    .kernarg_segment_align: 8
    .kernarg_segment_size: 416
    .language:       OpenCL C
    .language_version:
      - 2
      - 0
    .max_flat_workgroup_size: 1024
    .name:           _ZN2at6native12_GLOBAL__N_137upsample_bicubic2d_backward_out_frameIN3c108BFloat16EfEEviT0_S5_bN5torch10headeronly6detail27GenericPackedTensorAccessorINS8_14TensorAccessorINS3_8ArrayRefIlEET_Lm3ENS7_16DefaultPtrTraitsElEENS_6detail16IndexBoundsCheckILm4ElEESD_Lm4ESE_lEENS9_INSA_ISC_KSD_Lm3ESE_lEESI_SK_Lm4ESE_lEE
    .private_segment_fixed_size: 0
    .sgpr_count:     40
    .sgpr_spill_count: 0
    .symbol:         _ZN2at6native12_GLOBAL__N_137upsample_bicubic2d_backward_out_frameIN3c108BFloat16EfEEviT0_S5_bN5torch10headeronly6detail27GenericPackedTensorAccessorINS8_14TensorAccessorINS3_8ArrayRefIlEET_Lm3ENS7_16DefaultPtrTraitsElEENS_6detail16IndexBoundsCheckILm4ElEESD_Lm4ESE_lEENS9_INSA_ISC_KSD_Lm3ESE_lEESI_SK_Lm4ESE_lEE.kd
    .uniform_work_group_size: 1
    .uses_dynamic_stack: false
    .vgpr_count:     36
    .vgpr_spill_count: 0
    .wavefront_size: 64
amdhsa.target:   amdgcn-amd-amdhsa--gfx90a
amdhsa.version:
  - 1
  - 2
...

	.end_amdgpu_metadata
